;; amdgpu-corpus repo=ROCm/rocFFT kind=compiled arch=gfx1201 opt=O3
	.text
	.amdgcn_target "amdgcn-amd-amdhsa--gfx1201"
	.amdhsa_code_object_version 6
	.protected	fft_rtc_back_len168_factors_2_3_4_7_wgs_252_tpt_14_dim2_sp_ip_CI_sbcc_twdbase8_2step_dirReg ; -- Begin function fft_rtc_back_len168_factors_2_3_4_7_wgs_252_tpt_14_dim2_sp_ip_CI_sbcc_twdbase8_2step_dirReg
	.globl	fft_rtc_back_len168_factors_2_3_4_7_wgs_252_tpt_14_dim2_sp_ip_CI_sbcc_twdbase8_2step_dirReg
	.p2align	8
	.type	fft_rtc_back_len168_factors_2_3_4_7_wgs_252_tpt_14_dim2_sp_ip_CI_sbcc_twdbase8_2step_dirReg,@function
fft_rtc_back_len168_factors_2_3_4_7_wgs_252_tpt_14_dim2_sp_ip_CI_sbcc_twdbase8_2step_dirReg: ; @fft_rtc_back_len168_factors_2_3_4_7_wgs_252_tpt_14_dim2_sp_ip_CI_sbcc_twdbase8_2step_dirReg
; %bb.0:
	s_load_b128 s[4:7], s[0:1], 0x10
	s_mov_b32 s3, 0
	s_mov_b32 s8, 0x38e27e00
	;; [unrolled: 1-line block ×4, first 2 shown]
	s_movk_i32 s10, 0xffee
	s_add_nc_u64 s[8:9], s[2:3], s[8:9]
	s_mov_b32 s11, -1
	s_add_co_i32 s9, s9, 0xe38e350
	s_mov_b32 s18, -1
	s_mul_u64 s[12:13], s[8:9], s[10:11]
	s_delay_alu instid0(SALU_CYCLE_1)
	s_mul_hi_u32 s2, s8, s12
	s_mul_i32 s15, s9, s12
	s_mul_hi_u32 s14, s9, s12
	s_mul_hi_u32 s16, s9, s13
	s_mul_i32 s12, s9, s13
	s_wait_kmcnt 0x0
	s_load_b64 s[10:11], s[4:5], 0x8
	s_mul_hi_u32 s5, s8, s13
	s_mul_i32 s4, s8, s13
	s_delay_alu instid0(SALU_CYCLE_1) | instskip(NEXT) | instid1(SALU_CYCLE_1)
	s_add_nc_u64 s[4:5], s[2:3], s[4:5]
	s_add_co_u32 s2, s4, s15
	s_add_co_ci_u32 s2, s5, s14
	s_add_co_ci_u32 s13, s16, 0
	s_mov_b64 s[16:17], 0
	s_add_nc_u64 s[4:5], s[2:3], s[12:13]
	s_delay_alu instid0(SALU_CYCLE_1) | instskip(NEXT) | instid1(VALU_DEP_1)
	v_add_co_u32 v1, s2, s8, s4
	s_cmp_lg_u32 s2, 0
	s_add_co_ci_u32 s12, s9, s5
	s_delay_alu instid0(VALU_DEP_1)
	v_readfirstlane_b32 s13, v1
	s_wait_kmcnt 0x0
	s_add_nc_u64 s[4:5], s[10:11], -1
	s_wait_alu 0xfffe
	s_mul_hi_u32 s9, s4, s12
	s_mul_i32 s8, s4, s12
	s_mul_hi_u32 s2, s4, s13
	s_mul_hi_u32 s15, s5, s13
	s_mul_i32 s13, s5, s13
	s_wait_alu 0xfffe
	s_add_nc_u64 s[8:9], s[2:3], s[8:9]
	s_mul_hi_u32 s14, s5, s12
	s_wait_alu 0xfffe
	s_add_co_u32 s2, s8, s13
	s_add_co_ci_u32 s2, s9, s15
	s_mul_i32 s12, s5, s12
	s_add_co_ci_u32 s13, s14, 0
	s_delay_alu instid0(SALU_CYCLE_1) | instskip(NEXT) | instid1(SALU_CYCLE_1)
	s_add_nc_u64 s[12:13], s[2:3], s[12:13]
	s_mul_u64 s[8:9], s[12:13], 18
	s_wait_alu 0xfffe
	v_sub_co_u32 v1, s2, s4, s8
	s_delay_alu instid0(VALU_DEP_1) | instskip(SKIP_1) | instid1(VALU_DEP_1)
	s_cmp_lg_u32 s2, 0
	s_sub_co_ci_u32 s14, s5, s9
	v_sub_co_u32 v2, s4, v1, 18
	s_delay_alu instid0(VALU_DEP_1) | instskip(SKIP_2) | instid1(VALU_DEP_2)
	s_cmp_lg_u32 s4, 0
	v_readfirstlane_b32 s15, v1
	s_sub_co_ci_u32 s8, s14, 0
	v_readfirstlane_b32 s2, v2
	s_add_nc_u64 s[4:5], s[12:13], 1
	s_delay_alu instid0(VALU_DEP_1)
	s_cmp_gt_u32 s2, 17
	s_cselect_b32 s2, -1, 0
	s_wait_alu 0xfffe
	s_cmp_eq_u32 s8, 0
	s_add_nc_u64 s[8:9], s[12:13], 2
	s_cselect_b32 s2, s2, -1
	s_delay_alu instid0(SALU_CYCLE_1)
	s_cmp_lg_u32 s2, 0
	s_wait_alu 0xfffe
	s_cselect_b32 s2, s8, s4
	s_cselect_b32 s4, s9, s5
	s_cmp_gt_u32 s15, 17
	s_load_b64 s[8:9], s[6:7], 0x0
	s_cselect_b32 s5, -1, 0
	s_cmp_eq_u32 s14, 0
	s_wait_alu 0xfffe
	s_cselect_b32 s5, s5, -1
	s_wait_alu 0xfffe
	s_cmp_lg_u32 s5, 0
	s_cselect_b32 s5, s4, s13
	s_cselect_b32 s4, s2, s12
	s_mov_b32 s2, ttmp9
	s_wait_alu 0xfffe
	s_add_nc_u64 s[12:13], s[4:5], 1
	s_delay_alu instid0(SALU_CYCLE_1) | instskip(NEXT) | instid1(VALU_DEP_1)
	v_cmp_lt_u64_e64 s4, s[2:3], s[12:13]
	s_and_b32 vcc_lo, exec_lo, s4
	s_cbranch_vccnz .LBB0_2
; %bb.1:
	v_cvt_f32_u32_e32 v1, s12
	s_sub_co_i32 s5, 0, s12
	s_mov_b32 s17, s3
	s_delay_alu instid0(VALU_DEP_1) | instskip(NEXT) | instid1(TRANS32_DEP_1)
	v_rcp_iflag_f32_e32 v1, v1
	v_mul_f32_e32 v1, 0x4f7ffffe, v1
	s_delay_alu instid0(VALU_DEP_1) | instskip(NEXT) | instid1(VALU_DEP_1)
	v_cvt_u32_f32_e32 v1, v1
	v_readfirstlane_b32 s4, v1
	s_wait_alu 0xfffe
	s_delay_alu instid0(VALU_DEP_1)
	s_mul_i32 s5, s5, s4
	s_wait_alu 0xfffe
	s_mul_hi_u32 s5, s4, s5
	s_wait_alu 0xfffe
	s_add_co_i32 s4, s4, s5
	s_wait_alu 0xfffe
	s_mul_hi_u32 s4, s2, s4
	s_wait_alu 0xfffe
	s_mul_i32 s5, s4, s12
	s_add_co_i32 s14, s4, 1
	s_wait_alu 0xfffe
	s_sub_co_i32 s5, s2, s5
	s_wait_alu 0xfffe
	s_sub_co_i32 s15, s5, s12
	s_cmp_ge_u32 s5, s12
	s_cselect_b32 s4, s14, s4
	s_cselect_b32 s5, s15, s5
	s_wait_alu 0xfffe
	s_add_co_i32 s14, s4, 1
	s_cmp_ge_u32 s5, s12
	s_cselect_b32 s16, s14, s4
.LBB0_2:
	v_mul_u32_u24_e32 v1, 0xe39, v0
	s_load_b128 s[4:7], s[6:7], 0x8
	s_mul_u64 s[12:13], s[16:17], s[12:13]
	s_wait_alu 0xfffe
	s_sub_nc_u64 s[2:3], s[2:3], s[12:13]
	v_lshrrev_b32_e32 v72, 16, v1
	s_clause 0x1
	s_load_b64 s[14:15], s[0:1], 0x0
	s_load_b64 s[12:13], s[0:1], 0x50
	s_mul_u64 s[20:21], s[2:3], 18
	s_delay_alu instid0(SALU_CYCLE_1)
	s_add_nc_u64 s[2:3], s[20:21], 18
	v_mul_lo_u16 v1, v72, 18
	s_wait_alu 0xfffe
	v_cmp_gt_u64_e64 s19, s[2:3], s[10:11]
	v_cmp_le_u64_e64 s3, s[2:3], s[10:11]
	v_add_nc_u32_e32 v28, 14, v72
	v_add_nc_u32_e32 v29, 28, v72
	v_sub_nc_u16 v1, v0, v1
	v_add_nc_u32_e32 v30, 42, v72
	v_add_nc_u32_e32 v31, 56, v72
	s_and_b32 vcc_lo, exec_lo, s19
	s_delay_alu instid0(VALU_DEP_3) | instskip(SKIP_3) | instid1(SALU_CYCLE_1)
	v_and_b32_e32 v74, 0xffff, v1
	s_wait_kmcnt 0x0
	s_mul_u64 s[22:23], s[20:21], s[4:5]
	s_mul_u64 s[6:7], s[6:7], s[16:17]
	s_add_nc_u64 s[6:7], s[6:7], s[22:23]
	v_add_co_u32 v12, s2, s20, v74
	s_wait_alu 0xf1ff
	v_add_co_ci_u32_e64 v13, null, s21, 0, s2
	s_cbranch_vccnz .LBB0_4
; %bb.3:
	v_mad_co_u64_u32 v[1:2], null, s4, v74, 0
	v_mad_co_u64_u32 v[3:4], null, s8, v72, 0
	v_add_nc_u32_e32 v16, 0x54, v72
	s_lshl_b64 s[16:17], s[6:7], 3
	v_add_nc_u32_e32 v33, 42, v72
	s_add_nc_u64 s[16:17], s[12:13], s[16:17]
	v_or_b32_e32 v23, 0x70, v72
	v_add_nc_u32_e32 v39, 0x46, v72
	v_mad_co_u64_u32 v[5:6], null, s5, v74, v[2:3]
	v_add_nc_u32_e32 v73, 14, v72
	v_mad_co_u64_u32 v[6:7], null, s8, v16, 0
	v_mad_co_u64_u32 v[21:22], null, s8, v33, 0
	;; [unrolled: 1-line block ×3, first 2 shown]
	v_mov_b32_e32 v2, v5
	v_mad_co_u64_u32 v[8:9], null, s8, v73, 0
	v_mad_co_u64_u32 v[10:11], null, s9, v72, v[4:5]
	v_mov_b32_e32 v5, v7
	v_add_nc_u32_e32 v17, 0x62, v72
	v_lshlrev_b64_e32 v[1:2], 3, v[1:2]
	v_dual_mov_b32 v7, v9 :: v_dual_add_nc_u32 v32, 56, v72
	v_mov_b32_e32 v4, v10
	v_mad_co_u64_u32 v[9:10], null, s9, v16, v[5:6]
	v_mad_co_u64_u32 v[14:15], null, s8, v17, 0
	s_delay_alu instid0(VALU_DEP_3) | instskip(SKIP_4) | instid1(VALU_DEP_4)
	v_lshlrev_b64_e32 v[3:4], 3, v[3:4]
	v_add_co_u32 v43, vcc_lo, s16, v1
	v_mad_co_u64_u32 v[10:11], null, s9, v73, v[7:8]
	v_add_co_ci_u32_e32 v44, vcc_lo, s17, v2, vcc_lo
	v_mov_b32_e32 v7, v9
	v_add_co_u32 v1, vcc_lo, v43, v3
	s_wait_alu 0xfffd
	s_delay_alu instid0(VALU_DEP_3) | instskip(NEXT) | instid1(VALU_DEP_3)
	v_add_co_ci_u32_e32 v2, vcc_lo, v44, v4, vcc_lo
	v_lshlrev_b64_e32 v[4:5], 3, v[6:7]
	v_mov_b32_e32 v3, v15
	v_mov_b32_e32 v9, v10
	v_add_nc_u32_e32 v11, 28, v72
	v_add_nc_u32_e32 v34, 0x8c, v72
	s_delay_alu instid0(VALU_DEP_4) | instskip(NEXT) | instid1(VALU_DEP_4)
	v_mad_co_u64_u32 v[6:7], null, s9, v17, v[3:4]
	v_lshlrev_b64_e32 v[7:8], 3, v[8:9]
	s_delay_alu instid0(VALU_DEP_4)
	v_mad_co_u64_u32 v[9:10], null, s8, v11, 0
	v_add_co_u32 v3, vcc_lo, v43, v4
	s_wait_alu 0xfffd
	v_add_co_ci_u32_e32 v4, vcc_lo, v44, v5, vcc_lo
	v_mov_b32_e32 v15, v6
	v_add_co_u32 v16, vcc_lo, v43, v7
	v_mov_b32_e32 v5, v10
	s_wait_alu 0xfffd
	v_add_co_ci_u32_e32 v17, vcc_lo, v44, v8, vcc_lo
	v_lshlrev_b64_e32 v[6:7], 3, v[14:15]
	v_mad_co_u64_u32 v[14:15], null, s8, v23, 0
	s_delay_alu instid0(VALU_DEP_2) | instskip(SKIP_1) | instid1(VALU_DEP_3)
	v_mad_co_u64_u32 v[18:19], null, s9, v11, v[5:6]
	v_add_co_u32 v19, vcc_lo, v43, v6
	v_mov_b32_e32 v5, v15
	s_wait_alu 0xfffd
	v_add_co_ci_u32_e32 v20, vcc_lo, v44, v7, vcc_lo
	s_delay_alu instid0(VALU_DEP_4) | instskip(NEXT) | instid1(VALU_DEP_3)
	v_mov_b32_e32 v10, v18
	v_mad_co_u64_u32 v[23:24], null, s9, v23, v[5:6]
	s_clause 0x3
	global_load_b64 v[5:6], v[1:2], off
	global_load_b64 v[7:8], v[3:4], off
	global_load_b64 v[3:4], v[16:17], off
	global_load_b64 v[1:2], v[19:20], off
	v_mov_b32_e32 v16, v22
	v_add_nc_u32_e32 v24, 0x7e, v72
	v_mad_co_u64_u32 v[19:20], null, s8, v32, 0
	v_lshlrev_b64_e32 v[9:10], 3, v[9:10]
	s_delay_alu instid0(VALU_DEP_4) | instskip(NEXT) | instid1(VALU_DEP_4)
	v_mad_co_u64_u32 v[16:17], null, s9, v33, v[16:17]
	v_mad_co_u64_u32 v[17:18], null, s8, v24, 0
	v_mov_b32_e32 v15, v23
	s_delay_alu instid0(VALU_DEP_4) | instskip(SKIP_4) | instid1(VALU_DEP_1)
	v_add_co_u32 v9, vcc_lo, v43, v9
	s_wait_alu 0xfffd
	v_add_co_ci_u32_e32 v10, vcc_lo, v44, v10, vcc_lo
	v_mov_b32_e32 v22, v16
	v_mov_b32_e32 v16, v18
	v_mad_co_u64_u32 v[23:24], null, s9, v24, v[16:17]
	v_mad_co_u64_u32 v[24:25], null, s8, v34, 0
	v_mov_b32_e32 v16, v20
	v_lshlrev_b64_e32 v[20:21], 3, v[21:22]
	s_delay_alu instid0(VALU_DEP_4) | instskip(NEXT) | instid1(VALU_DEP_3)
	v_mov_b32_e32 v18, v23
	v_mad_co_u64_u32 v[22:23], null, s9, v32, v[16:17]
	v_mov_b32_e32 v16, v25
	v_lshlrev_b64_e32 v[14:15], 3, v[14:15]
	v_add_nc_u32_e32 v23, 0x9a, v72
	s_delay_alu instid0(VALU_DEP_3) | instskip(NEXT) | instid1(VALU_DEP_3)
	v_mad_co_u64_u32 v[34:35], null, s9, v34, v[16:17]
	v_add_co_u32 v14, vcc_lo, v43, v14
	s_wait_alu 0xfffd
	s_delay_alu instid0(VALU_DEP_4)
	v_add_co_ci_u32_e32 v15, vcc_lo, v44, v15, vcc_lo
	v_add_co_u32 v37, vcc_lo, v43, v20
	v_mov_b32_e32 v20, v22
	v_mad_co_u64_u32 v[35:36], null, s8, v23, 0
	v_lshlrev_b64_e32 v[17:18], 3, v[17:18]
	v_mov_b32_e32 v16, v27
	s_wait_alu 0xfffd
	v_add_co_ci_u32_e32 v38, vcc_lo, v44, v21, vcc_lo
	v_mov_b32_e32 v25, v34
	v_lshlrev_b64_e32 v[19:20], 3, v[19:20]
	v_mad_co_u64_u32 v[21:22], null, s9, v39, v[16:17]
	v_mov_b32_e32 v16, v36
	v_add_co_u32 v17, vcc_lo, v43, v17
	s_wait_alu 0xfffd
	v_add_co_ci_u32_e32 v18, vcc_lo, v44, v18, vcc_lo
	v_add_co_u32 v39, vcc_lo, v43, v19
	s_delay_alu instid0(VALU_DEP_3) | instskip(SKIP_4) | instid1(VALU_DEP_4)
	v_mad_co_u64_u32 v[22:23], null, s9, v23, v[16:17]
	v_mov_b32_e32 v27, v21
	v_lshlrev_b64_e32 v[23:24], 3, v[24:25]
	s_wait_alu 0xfffd
	v_add_co_ci_u32_e32 v40, vcc_lo, v44, v20, vcc_lo
	v_mov_b32_e32 v36, v22
	v_lshlrev_b64_e32 v[19:20], 3, v[26:27]
	s_delay_alu instid0(VALU_DEP_4) | instskip(SKIP_3) | instid1(VALU_DEP_4)
	v_add_co_u32 v41, vcc_lo, v43, v23
	s_wait_alu 0xfffd
	v_add_co_ci_u32_e32 v42, vcc_lo, v44, v24, vcc_lo
	v_lshlrev_b64_e32 v[21:22], 3, v[35:36]
	v_add_co_u32 v34, vcc_lo, v43, v19
	s_wait_alu 0xfffd
	v_add_co_ci_u32_e32 v35, vcc_lo, v44, v20, vcc_lo
	s_delay_alu instid0(VALU_DEP_3)
	v_add_co_u32 v43, vcc_lo, v43, v21
	s_wait_alu 0xfffd
	v_add_co_ci_u32_e32 v44, vcc_lo, v44, v22, vcc_lo
	s_clause 0x7
	global_load_b64 v[22:23], v[9:10], off
	global_load_b64 v[26:27], v[14:15], off
	;; [unrolled: 1-line block ×8, first 2 shown]
	s_cbranch_execz .LBB0_5
	s_branch .LBB0_10
.LBB0_4:
                                        ; implicit-def: $vgpr1
                                        ; implicit-def: $vgpr16
                                        ; implicit-def: $vgpr9
                                        ; implicit-def: $vgpr18
                                        ; implicit-def: $vgpr14
                                        ; implicit-def: $vgpr24
                                        ; implicit-def: $vgpr20
                                        ; implicit-def: $vgpr26
                                        ; implicit-def: $vgpr22
                                        ; implicit-def: $vgpr3
                                        ; implicit-def: $vgpr7
                                        ; implicit-def: $vgpr5
                                        ; implicit-def: $vgpr73
                                        ; implicit-def: $vgpr11
                                        ; implicit-def: $vgpr33
                                        ; implicit-def: $vgpr32
	s_and_not1_b32 vcc_lo, exec_lo, s18
	s_cbranch_vccnz .LBB0_10
.LBB0_5:
	s_mov_b32 s2, exec_lo
                                        ; implicit-def: $vgpr73
                                        ; implicit-def: $vgpr11
                                        ; implicit-def: $vgpr33
                                        ; implicit-def: $vgpr32
	v_cmpx_le_u64_e64 s[10:11], v[12:13]
	s_wait_alu 0xfffe
	s_xor_b32 s2, exec_lo, s2
; %bb.6:
	v_add_nc_u32_e32 v73, 14, v72
	v_add_nc_u32_e32 v11, 28, v72
	;; [unrolled: 1-line block ×4, first 2 shown]
                                        ; implicit-def: $vgpr28
                                        ; implicit-def: $vgpr29
                                        ; implicit-def: $vgpr30
                                        ; implicit-def: $vgpr31
; %bb.7:
	s_wait_alu 0xfffe
	s_or_saveexec_b32 s2, s2
                                        ; implicit-def: $vgpr1
                                        ; implicit-def: $vgpr16
                                        ; implicit-def: $vgpr9
                                        ; implicit-def: $vgpr18
                                        ; implicit-def: $vgpr14
                                        ; implicit-def: $vgpr24
                                        ; implicit-def: $vgpr20
                                        ; implicit-def: $vgpr26
                                        ; implicit-def: $vgpr22
                                        ; implicit-def: $vgpr3
                                        ; implicit-def: $vgpr7
                                        ; implicit-def: $vgpr5
	s_wait_alu 0xfffe
	s_xor_b32 exec_lo, exec_lo, s2
	s_cbranch_execz .LBB0_9
; %bb.8:
	s_wait_loadcnt 0x8
	v_mad_co_u64_u32 v[1:2], null, s4, v74, 0
	v_mad_co_u64_u32 v[3:4], null, s8, v72, 0
	s_wait_loadcnt 0x0
	v_add_nc_u32_e32 v16, 0x54, v72
	v_mad_co_u64_u32 v[5:6], null, s8, v28, 0
	s_lshl_b64 s[16:17], s[6:7], 3
	v_mov_b32_e32 v73, v28
	s_delay_alu instid0(VALU_DEP_3) | instskip(SKIP_1) | instid1(VALU_DEP_4)
	v_mad_co_u64_u32 v[7:8], null, s8, v16, 0
	v_mad_co_u64_u32 v[9:10], null, s5, v74, v[2:3]
	;; [unrolled: 1-line block ×3, first 2 shown]
	v_add_nc_u32_e32 v17, 0x62, v72
	s_wait_alu 0xfffe
	s_add_nc_u64 s[16:17], s[12:13], s[16:17]
	s_delay_alu instid0(VALU_DEP_4) | instskip(NEXT) | instid1(VALU_DEP_4)
	v_dual_mov_b32 v4, v8 :: v_dual_add_nc_u32 v35, 0x46, v72
	v_mov_b32_e32 v2, v9
	v_mad_co_u64_u32 v[14:15], null, s8, v17, 0
	s_delay_alu instid0(VALU_DEP_3) | instskip(SKIP_1) | instid1(VALU_DEP_4)
	v_mad_co_u64_u32 v[8:9], null, s9, v16, v[4:5]
	v_mov_b32_e32 v4, v10
	v_lshlrev_b64_e32 v[1:2], 3, v[1:2]
	v_mad_co_u64_u32 v[9:10], null, s9, v28, v[6:7]
	v_mov_b32_e32 v10, v15
	s_delay_alu instid0(VALU_DEP_4)
	v_lshlrev_b64_e32 v[3:4], 3, v[3:4]
	v_mad_co_u64_u32 v[26:27], null, s8, v35, 0
	s_wait_alu 0xfffe
	v_add_co_u32 v39, vcc_lo, s16, v1
	s_wait_alu 0xfffd
	v_add_co_ci_u32_e32 v40, vcc_lo, s17, v2, vcc_lo
	v_mov_b32_e32 v6, v9
	s_delay_alu instid0(VALU_DEP_3) | instskip(SKIP_1) | instid1(VALU_DEP_3)
	v_add_co_u32 v1, vcc_lo, v39, v3
	s_wait_alu 0xfffd
	v_add_co_ci_u32_e32 v2, vcc_lo, v40, v4, vcc_lo
	v_lshlrev_b64_e32 v[3:4], 3, v[7:8]
	v_mad_co_u64_u32 v[7:8], null, s9, v17, v[10:11]
	v_mad_co_u64_u32 v[9:10], null, s8, v29, 0
	v_or_b32_e32 v11, 0x70, v72
	s_delay_alu instid0(VALU_DEP_4) | instskip(SKIP_2) | instid1(VALU_DEP_3)
	v_add_co_u32 v3, vcc_lo, v39, v3
	s_wait_alu 0xfffd
	v_add_co_ci_u32_e32 v4, vcc_lo, v40, v4, vcc_lo
	v_mad_co_u64_u32 v[16:17], null, s8, v11, 0
	v_mov_b32_e32 v15, v7
	v_mov_b32_e32 v7, v10
	s_delay_alu instid0(VALU_DEP_1) | instskip(NEXT) | instid1(VALU_DEP_4)
	v_mad_co_u64_u32 v[7:8], null, s9, v29, v[7:8]
	v_mov_b32_e32 v8, v17
	s_delay_alu instid0(VALU_DEP_1) | instskip(NEXT) | instid1(VALU_DEP_3)
	v_mad_co_u64_u32 v[22:23], null, s9, v11, v[8:9]
	v_dual_mov_b32 v10, v7 :: v_dual_add_nc_u32 v23, 0x7e, v72
	s_delay_alu instid0(VALU_DEP_2) | instskip(SKIP_1) | instid1(VALU_DEP_2)
	v_mov_b32_e32 v17, v22
	v_lshlrev_b64_e32 v[5:6], 3, v[5:6]
	v_lshlrev_b64_e32 v[16:17], 3, v[16:17]
	s_delay_alu instid0(VALU_DEP_2) | instskip(SKIP_1) | instid1(VALU_DEP_3)
	v_add_co_u32 v18, vcc_lo, v39, v5
	s_wait_alu 0xfffd
	v_add_co_ci_u32_e32 v19, vcc_lo, v40, v6, vcc_lo
	v_lshlrev_b64_e32 v[5:6], 3, v[14:15]
	v_mad_co_u64_u32 v[14:15], null, s8, v30, 0
	s_delay_alu instid0(VALU_DEP_2) | instskip(SKIP_1) | instid1(VALU_DEP_3)
	v_add_co_u32 v20, vcc_lo, v39, v5
	s_wait_alu 0xfffd
	v_add_co_ci_u32_e32 v21, vcc_lo, v40, v6, vcc_lo
	s_delay_alu instid0(VALU_DEP_3)
	v_mov_b32_e32 v11, v15
	s_clause 0x3
	global_load_b64 v[5:6], v[1:2], off
	global_load_b64 v[7:8], v[3:4], off
	;; [unrolled: 1-line block ×4, first 2 shown]
	v_mad_co_u64_u32 v[21:22], null, s8, v31, 0
	v_mad_co_u64_u32 v[18:19], null, s9, v30, v[11:12]
	;; [unrolled: 1-line block ×3, first 2 shown]
	s_delay_alu instid0(VALU_DEP_2) | instskip(NEXT) | instid1(VALU_DEP_2)
	v_dual_mov_b32 v15, v18 :: v_dual_add_nc_u32 v18, 0x8c, v72
	v_mov_b32_e32 v11, v20
	v_lshlrev_b64_e32 v[9:10], 3, v[9:10]
	s_delay_alu instid0(VALU_DEP_3) | instskip(NEXT) | instid1(VALU_DEP_3)
	v_lshlrev_b64_e32 v[14:15], 3, v[14:15]
	v_mad_co_u64_u32 v[23:24], null, s9, v23, v[11:12]
	v_mov_b32_e32 v11, v22
	v_mad_co_u64_u32 v[24:25], null, s8, v18, 0
	v_add_co_u32 v9, vcc_lo, v39, v9
	s_wait_alu 0xfffd
	v_add_co_ci_u32_e32 v10, vcc_lo, v40, v10, vcc_lo
	v_mov_b32_e32 v20, v23
	v_mad_co_u64_u32 v[22:23], null, s9, v31, v[11:12]
	v_mov_b32_e32 v11, v25
	v_add_nc_u32_e32 v23, 0x9a, v72
	v_add_co_u32 v16, vcc_lo, v39, v16
	s_wait_alu 0xfffd
	v_add_co_ci_u32_e32 v17, vcc_lo, v40, v17, vcc_lo
	v_mad_co_u64_u32 v[32:33], null, s9, v18, v[11:12]
	v_mad_co_u64_u32 v[33:34], null, s8, v23, 0
	v_mov_b32_e32 v11, v27
	v_lshlrev_b64_e32 v[18:19], 3, v[19:20]
	v_lshlrev_b64_e32 v[20:21], 3, v[21:22]
	v_add_co_u32 v14, vcc_lo, v39, v14
	s_delay_alu instid0(VALU_DEP_4)
	v_mad_co_u64_u32 v[35:36], null, s9, v35, v[11:12]
	v_mov_b32_e32 v11, v34
	v_mov_b32_e32 v25, v32
	s_wait_alu 0xfffd
	v_add_co_ci_u32_e32 v15, vcc_lo, v40, v15, vcc_lo
	v_add_co_u32 v18, vcc_lo, v39, v18
	v_mad_co_u64_u32 v[22:23], null, s9, v23, v[11:12]
	v_mov_b32_e32 v27, v35
	s_wait_alu 0xfffd
	v_add_co_ci_u32_e32 v19, vcc_lo, v40, v19, vcc_lo
	v_lshlrev_b64_e32 v[23:24], 3, v[24:25]
	v_add_co_u32 v35, vcc_lo, v39, v20
	v_mov_b32_e32 v34, v22
	s_wait_alu 0xfffd
	v_add_co_ci_u32_e32 v36, vcc_lo, v40, v21, vcc_lo
	v_lshlrev_b64_e32 v[20:21], 3, v[26:27]
	v_add_co_u32 v37, vcc_lo, v39, v23
	v_lshlrev_b64_e32 v[22:23], 3, v[33:34]
	s_wait_alu 0xfffd
	v_add_co_ci_u32_e32 v38, vcc_lo, v40, v24, vcc_lo
	s_delay_alu instid0(VALU_DEP_4)
	v_add_co_u32 v32, vcc_lo, v39, v20
	s_wait_alu 0xfffd
	v_add_co_ci_u32_e32 v33, vcc_lo, v40, v21, vcc_lo
	v_add_co_u32 v39, vcc_lo, v39, v22
	s_wait_alu 0xfffd
	v_add_co_ci_u32_e32 v40, vcc_lo, v40, v23, vcc_lo
	s_clause 0x7
	global_load_b64 v[22:23], v[9:10], off
	global_load_b64 v[26:27], v[16:17], off
	;; [unrolled: 1-line block ×8, first 2 shown]
	v_dual_mov_b32 v32, v31 :: v_dual_mov_b32 v11, v29
	v_mov_b32_e32 v33, v30
.LBB0_9:
	s_or_b32 exec_lo, exec_lo, s2
.LBB0_10:
	s_wait_loadcnt 0xa
	v_dual_sub_f32 v7, v5, v7 :: v_dual_sub_f32 v8, v6, v8
	s_wait_loadcnt 0x8
	v_dual_sub_f32 v28, v3, v1 :: v_dual_sub_f32 v29, v4, v2
	v_mul_u32_u24_e32 v1, 0x120, v72
	v_lshlrev_b32_e32 v2, 3, v74
	v_mul_i32_i24_e32 v30, 0x120, v73
	v_fma_f32 v5, v5, 2.0, -v7
	v_fma_f32 v6, v6, 2.0, -v8
	s_wait_loadcnt 0x6
	v_dual_sub_f32 v26, v22, v26 :: v_dual_sub_f32 v27, v23, v27
	v_add3_u32 v1, 0, v1, v2
	v_mul_i32_i24_e32 v31, 0x120, v11
	v_fma_f32 v3, v3, 2.0, -v28
	v_fma_f32 v4, v4, 2.0, -v29
	s_wait_loadcnt 0x4
	v_dual_sub_f32 v24, v20, v24 :: v_dual_sub_f32 v25, v21, v25
	v_add3_u32 v30, 0, v30, v2
	v_mul_i32_i24_e32 v34, 0x120, v33
	s_wait_loadcnt 0x2
	v_dual_sub_f32 v18, v14, v18 :: v_dual_sub_f32 v19, v15, v19
	v_mul_i32_i24_e32 v35, 0x120, v32
	s_wait_loadcnt 0x0
	v_dual_sub_f32 v16, v9, v16 :: v_dual_sub_f32 v17, v10, v17
	v_fma_f32 v22, v22, 2.0, -v26
	v_fma_f32 v23, v23, 2.0, -v27
	ds_store_2addr_b64 v1, v[5:6], v[7:8] offset1:18
	ds_store_2addr_b64 v30, v[3:4], v[28:29] offset1:18
	v_add3_u32 v3, 0, v31, v2
	v_and_b32_e32 v29, 1, v72
	v_fma_f32 v20, v20, 2.0, -v24
	v_fma_f32 v21, v21, 2.0, -v25
	v_add3_u32 v4, 0, v34, v2
	v_fma_f32 v14, v14, 2.0, -v18
	v_fma_f32 v15, v15, 2.0, -v19
	v_add3_u32 v28, 0, v35, v2
	v_fma_f32 v9, v9, 2.0, -v16
	v_fma_f32 v10, v10, 2.0, -v17
	v_add_nc_u32_e32 v1, 0x4800, v1
	ds_store_2addr_b64 v3, v[22:23], v[26:27] offset1:18
	ds_store_2addr_b64 v4, v[20:21], v[24:25] offset1:18
	;; [unrolled: 1-line block ×3, first 2 shown]
	ds_store_2addr_b64 v1, v[9:10], v[16:17] offset0:216 offset1:234
	v_lshlrev_b32_e32 v1, 4, v29
	global_wb scope:SCOPE_SE
	s_wait_dscnt 0x0
	s_barrier_signal -1
	s_barrier_wait -1
	global_inv scope:SCOPE_SE
	global_load_b128 v[5:8], v1, s[14:15]
	v_mul_u32_u24_e32 v1, 0x90, v72
	v_mul_i32_i24_e32 v9, 0x90, v11
	v_mul_i32_i24_e32 v10, 0x90, v33
	v_lshrrev_b32_e32 v14, 1, v72
	v_lshrrev_b32_e32 v15, 1, v73
	;; [unrolled: 1-line block ×4, first 2 shown]
	v_and_b32_e32 v20, 0xff, v11
	v_add3_u32 v3, 0, v1, v2
	v_mul_lo_u16 v18, v72, 43
	v_add3_u32 v48, 0, v9, v2
	v_add3_u32 v36, 0, v10, v2
	v_mul_u32_u24_e32 v9, 6, v14
	v_mul_lo_u32 v10, v15, 6
	v_mul_lo_u32 v14, v16, 6
	;; [unrolled: 1-line block ×3, first 2 shown]
	v_mul_i32_i24_e32 v4, 0x90, v73
	v_and_b32_e32 v19, 0xff, v73
	v_mul_lo_u16 v16, 0xab, v20
	v_add_nc_u32_e32 v17, 0x3720, v3
	v_lshrrev_b16 v37, 8, v18
	v_add_nc_u32_e32 v18, 0x2760, v3
	v_add_nc_u32_e32 v22, 0x46e0, v3
	v_mad_i32_i24 v30, 0xffffff70, v32, v28
	v_add3_u32 v4, 0, v4, v2
	v_mul_lo_u16 v1, 0xab, v19
	v_or_b32_e32 v38, v9, v29
	v_lshrrev_b16 v43, 10, v16
	v_or_b32_e32 v40, v10, v29
	v_or_b32_e32 v41, v14, v29
	;; [unrolled: 1-line block ×3, first 2 shown]
	ds_load_b64 v[9:10], v3
	ds_load_2addr_b64 v[14:17], v17 offset1:252
	ds_load_2addr_b64 v[18:21], v18 offset1:252
	;; [unrolled: 1-line block ×3, first 2 shown]
	ds_load_b64 v[26:27], v48
	ds_load_b64 v[28:29], v36
	;; [unrolled: 1-line block ×4, first 2 shown]
	ds_load_b64 v[34:35], v3 offset:22176
	v_mul_lo_u16 v39, v37, 6
	v_lshrrev_b16 v42, 10, v1
	v_mul_lo_u32 v40, 0x90, v40
	v_mul_lo_u32 v41, 0x90, v41
	;; [unrolled: 1-line block ×3, first 2 shown]
	v_sub_nc_u16 v39, v72, v39
	v_mul_lo_u16 v45, v42, 6
	v_mul_lo_u16 v46, v43, 6
	v_mul_u32_u24_e32 v38, 0x90, v38
	global_wb scope:SCOPE_SE
	s_wait_loadcnt_dscnt 0x0
	v_and_b32_e32 v47, 0xff, v39
	v_sub_nc_u16 v39, v73, v45
	v_sub_nc_u16 v11, v11, v46
	s_barrier_signal -1
	s_barrier_wait -1
	global_inv scope:SCOPE_SE
	v_cmp_gt_u32_e64 s2, 0xb4, v0
	v_and_b32_e32 v11, 0xff, v11
	s_mov_b32 s16, 0
	v_mul_f32_e32 v49, v6, v31
	v_dual_mul_f32 v50, v6, v30 :: v_dual_mul_f32 v51, v8, v17
	v_mul_f32_e32 v52, v8, v16
	v_mul_f32_e32 v60, v8, v24
	v_mul_u32_u24_e32 v45, 3, v47
	v_dual_fmac_f32 v49, v5, v30 :: v_dual_and_b32 v46, 0xff, v39
	v_add3_u32 v39, 0, v40, v2
	v_add3_u32 v40, 0, v41, v2
	;; [unrolled: 1-line block ×3, first 2 shown]
	v_dual_mul_f32 v53, v6, v19 :: v_dual_lshlrev_b32 v44, 3, v45
	v_dual_mul_f32 v54, v6, v18 :: v_dual_mul_f32 v55, v8, v23
	v_mul_f32_e32 v62, v35, v8
	v_dual_mul_f32 v56, v8, v22 :: v_dual_mul_f32 v57, v6, v21
	v_dual_mul_f32 v58, v6, v20 :: v_dual_mul_f32 v59, v8, v25
	v_dual_mul_f32 v8, v34, v8 :: v_dual_fmac_f32 v53, v5, v18
	v_fma_f32 v30, v5, v31, -v50
	v_dual_fmac_f32 v51, v7, v16 :: v_dual_fmac_f32 v62, v34, v7
	v_fma_f32 v16, v7, v17, -v52
	v_mul_f32_e32 v61, v6, v15
	v_mul_f32_e32 v6, v6, v14
	v_fma_f32 v17, v5, v19, -v54
	s_delay_alu instid0(VALU_DEP_4) | instskip(SKIP_3) | instid1(VALU_DEP_4)
	v_dual_fmac_f32 v55, v7, v22 :: v_dual_sub_f32 v22, v30, v16
	v_fma_f32 v18, v7, v23, -v56
	v_fmac_f32_e32 v57, v5, v20
	v_fma_f32 v19, v5, v21, -v58
	v_dual_fmac_f32 v59, v7, v24 :: v_dual_add_f32 v24, v53, v55
	v_fma_f32 v20, v7, v25, -v60
	v_fma_f32 v21, v35, v7, -v8
	v_dual_add_f32 v8, v10, v30 :: v_dual_add_f32 v7, v49, v51
	v_dual_add_f32 v34, v26, v57 :: v_dual_fmac_f32 v61, v5, v14
	v_add_f32_e32 v14, v30, v16
	v_fma_f32 v5, v5, v15, -v6
	v_add_f32_e32 v6, v9, v49
	v_sub_f32_e32 v25, v17, v18
	v_add_f32_e32 v30, v33, v17
	v_fma_f32 v9, -0.5, v7, v9
	v_add_f32_e32 v17, v17, v18
	v_sub_f32_e32 v23, v49, v51
	v_dual_add_f32 v15, v32, v53 :: v_dual_add_f32 v50, v27, v19
	v_sub_f32_e32 v49, v19, v20
	v_add_f32_e32 v35, v57, v59
	v_dual_add_f32 v19, v19, v20 :: v_dual_sub_f32 v52, v57, v59
	v_dual_sub_f32 v31, v53, v55 :: v_dual_fmac_f32 v10, -0.5, v14
	v_dual_add_f32 v53, v28, v61 :: v_dual_add_f32 v54, v61, v62
	v_dual_add_f32 v58, v5, v21 :: v_dual_add_f32 v7, v15, v55
	v_sub_f32_e32 v56, v5, v21
	v_add_f32_e32 v57, v29, v5
	v_dual_add_f32 v5, v6, v51 :: v_dual_add_f32 v6, v8, v16
	v_fma_f32 v32, -0.5, v24, v32
	v_add_f32_e32 v8, v30, v18
	v_fmamk_f32 v18, v22, 0xbf5db3d7, v9
	v_dual_sub_f32 v60, v61, v62 :: v_dual_fmac_f32 v33, -0.5, v17
	v_add_f32_e32 v14, v34, v59
	v_fma_f32 v26, -0.5, v35, v26
	v_fmac_f32_e32 v27, -0.5, v19
	v_add3_u32 v38, 0, v38, v2
	v_mul_u32_u24_e32 v45, 3, v46
	v_fma_f32 v28, -0.5, v54, v28
	v_fmac_f32_e32 v29, -0.5, v58
	v_fmamk_f32 v19, v23, 0x3f5db3d7, v10
	v_fmac_f32_e32 v9, 0x3f5db3d7, v22
	v_dual_fmac_f32 v10, 0xbf5db3d7, v23 :: v_dual_add_f32 v15, v50, v20
	v_add_f32_e32 v16, v53, v62
	v_dual_add_f32 v17, v57, v21 :: v_dual_fmamk_f32 v24, v56, 0xbf5db3d7, v28
	v_fmamk_f32 v20, v25, 0xbf5db3d7, v32
	v_dual_fmamk_f32 v21, v31, 0x3f5db3d7, v33 :: v_dual_fmac_f32 v28, 0x3f5db3d7, v56
	v_fmac_f32_e32 v32, 0x3f5db3d7, v25
	v_dual_fmac_f32 v33, 0xbf5db3d7, v31 :: v_dual_fmamk_f32 v22, v49, 0xbf5db3d7, v26
	v_dual_fmamk_f32 v23, v52, 0x3f5db3d7, v27 :: v_dual_fmac_f32 v26, 0x3f5db3d7, v49
	v_fmac_f32_e32 v27, 0xbf5db3d7, v52
	v_fmamk_f32 v25, v60, 0x3f5db3d7, v29
	v_fmac_f32_e32 v29, 0xbf5db3d7, v60
	ds_store_2addr_b64 v38, v[5:6], v[18:19] offset1:36
	ds_store_b64 v38, v[9:10] offset:576
	ds_store_2addr_b64 v39, v[7:8], v[20:21] offset1:36
	ds_store_b64 v39, v[32:33] offset:576
	;; [unrolled: 2-line block ×4, first 2 shown]
	v_lshlrev_b32_e32 v18, 3, v45
	global_wb scope:SCOPE_SE
	s_wait_dscnt 0x0
	s_barrier_signal -1
	s_barrier_wait -1
	global_inv scope:SCOPE_SE
	s_clause 0x2
	global_load_b128 v[5:8], v44, s[14:15] offset:32
	global_load_b64 v[9:10], v44, s[14:15] offset:48
	global_load_b128 v[14:17], v18, s[14:15] offset:32
	v_mul_u32_u24_e32 v19, 3, v11
	v_add_nc_u32_e32 v26, 0x3f00, v3
	s_delay_alu instid0(VALU_DEP_2)
	v_lshlrev_b32_e32 v22, 3, v19
	s_clause 0x2
	global_load_b64 v[38:39], v18, s[14:15] offset:48
	global_load_b128 v[18:21], v22, s[14:15] offset:32
	global_load_b64 v[40:41], v22, s[14:15] offset:48
	v_and_b32_e32 v22, 0xffff, v37
	s_delay_alu instid0(VALU_DEP_1) | instskip(NEXT) | instid1(VALU_DEP_1)
	v_mul_u32_u24_e32 v22, 24, v22
	v_or_b32_e32 v22, v22, v47
	s_delay_alu instid0(VALU_DEP_1) | instskip(NEXT) | instid1(VALU_DEP_1)
	v_mul_u32_u24_e32 v27, 0x90, v22
	v_add3_u32 v50, 0, v27, v2
	ds_load_2addr_b64 v[26:29], v26 offset1:252
	v_and_b32_e32 v23, 0xffff, v42
	v_add_nc_u32_e32 v30, 0x1f80, v3
	v_add_nc_u32_e32 v34, 0x4ec0, v3
	s_wait_loadcnt_dscnt 0x400
	v_dual_mul_f32 v56, v10, v29 :: v_dual_add_nc_u32 v25, 0x2f40, v3
	v_mul_f32_e32 v10, v10, v28
	v_mul_u32_u24_e32 v23, 24, v23
	s_delay_alu instid0(VALU_DEP_3) | instskip(NEXT) | instid1(VALU_DEP_2)
	v_fmac_f32_e32 v56, v9, v28
	v_or_b32_e32 v23, v23, v46
	s_wait_loadcnt 0x1
	v_mul_f32_e32 v61, v27, v21
	v_mul_f32_e32 v21, v26, v21
	s_delay_alu instid0(VALU_DEP_3) | instskip(NEXT) | instid1(VALU_DEP_3)
	v_mul_u32_u24_e32 v31, 0x90, v23
	v_fmac_f32_e32 v61, v26, v20
	s_delay_alu instid0(VALU_DEP_2)
	v_add3_u32 v51, 0, v31, v2
	ds_load_2addr_b64 v[30:33], v30 offset1:252
	v_and_b32_e32 v24, 0xffff, v43
	ds_load_b64 v[42:43], v36
	ds_load_2addr_b64 v[34:37], v34 offset1:252
	v_add_nc_u32_e32 v52, 0x400, v51
	s_wait_dscnt 0x2
	v_mul_f32_e32 v57, v15, v31
	v_mul_f32_e32 v15, v15, v30
	v_mul_u32_u24_e32 v24, 24, v24
	s_wait_loadcnt_dscnt 0x0
	v_mul_f32_e32 v62, v37, v41
	v_mul_f32_e32 v54, v6, v43
	v_dual_mul_f32 v6, v6, v42 :: v_dual_mul_f32 v59, v35, v39
	v_or_b32_e32 v11, v24, v11
	ds_load_2addr_b64 v[22:25], v25 offset1:252
	v_fmac_f32_e32 v54, v5, v42
	ds_load_b64 v[44:45], v3
	ds_load_b64 v[46:47], v4
	ds_load_b64 v[48:49], v48
	v_mul_f32_e32 v39, v34, v39
	v_mul_u32_u24_e32 v11, 0x90, v11
	v_mul_f32_e32 v60, v33, v19
	v_mul_f32_e32 v19, v32, v19
	;; [unrolled: 1-line block ×3, first 2 shown]
	v_fma_f32 v5, v5, v43, -v6
	v_add3_u32 v2, 0, v11, v2
	v_add_nc_u32_e32 v11, 0x400, v50
	v_dual_fmac_f32 v57, v14, v30 :: v_dual_fmac_f32 v62, v36, v40
	v_fmac_f32_e32 v60, v32, v18
	s_delay_alu instid0(VALU_DEP_4)
	v_add_nc_u32_e32 v53, 0x400, v2
	global_wb scope:SCOPE_SE
	s_wait_dscnt 0x0
	s_barrier_signal -1
	s_barrier_wait -1
	global_inv scope:SCOPE_SE
	v_mul_f32_e32 v55, v8, v23
	v_mul_f32_e32 v8, v8, v22
	;; [unrolled: 1-line block ×4, first 2 shown]
	s_delay_alu instid0(VALU_DEP_4) | instskip(NEXT) | instid1(VALU_DEP_4)
	v_fmac_f32_e32 v55, v7, v22
	v_fma_f32 v6, v7, v23, -v8
	s_delay_alu instid0(VALU_DEP_4)
	v_fmac_f32_e32 v58, v16, v24
	v_fma_f32 v7, v9, v29, -v10
	v_fma_f32 v8, v14, v31, -v15
	v_fma_f32 v9, v16, v25, -v17
	v_fmac_f32_e32 v59, v34, v38
	v_fma_f32 v10, v35, v38, -v39
	v_fma_f32 v16, v33, v18, -v19
	v_sub_f32_e32 v18, v44, v55
	v_fma_f32 v14, v27, v20, -v21
	v_fma_f32 v15, v37, v40, -v41
	v_dual_sub_f32 v19, v45, v6 :: v_dual_sub_f32 v22, v48, v61
	v_dual_sub_f32 v6, v54, v56 :: v_dual_sub_f32 v7, v5, v7
	;; [unrolled: 1-line block ×5, first 2 shown]
	v_sub_f32_e32 v17, v60, v62
	v_fma_f32 v28, v44, 2.0, -v18
	v_fma_f32 v29, v45, 2.0, -v19
	v_fma_f32 v25, v54, 2.0, -v6
	v_fma_f32 v26, v5, 2.0, -v7
	v_sub_f32_e32 v6, v19, v6
	v_fma_f32 v30, v46, 2.0, -v20
	v_fma_f32 v31, v47, 2.0, -v21
	v_fma_f32 v27, v57, 2.0, -v9
	v_fma_f32 v32, v8, 2.0, -v10
	v_dual_add_f32 v5, v18, v7 :: v_dual_add_f32 v14, v20, v10
	v_fma_f32 v33, v48, 2.0, -v22
	v_fma_f32 v34, v49, 2.0, -v23
	;; [unrolled: 1-line block ×3, first 2 shown]
	v_add_f32_e32 v16, v22, v24
	v_fma_f32 v35, v60, 2.0, -v17
	v_dual_sub_f32 v17, v23, v17 :: v_dual_sub_f32 v8, v29, v26
	v_sub_f32_e32 v7, v28, v25
	v_dual_sub_f32 v15, v21, v9 :: v_dual_sub_f32 v24, v30, v27
	v_sub_f32_e32 v25, v31, v32
	v_fma_f32 v9, v18, 2.0, -v5
	v_fma_f32 v10, v19, 2.0, -v6
	v_dual_sub_f32 v18, v33, v35 :: v_dual_sub_f32 v19, v34, v36
	v_fma_f32 v28, v28, 2.0, -v7
	v_fma_f32 v29, v29, 2.0, -v8
	;; [unrolled: 1-line block ×10, first 2 shown]
	ds_store_2addr_b64 v11, v[7:8], v[5:6] offset0:88 offset1:196
	ds_store_2addr_b64 v50, v[28:29], v[9:10] offset1:108
	ds_store_2addr_b64 v51, v[30:31], v[26:27] offset1:108
	ds_store_2addr_b64 v52, v[24:25], v[14:15] offset0:88 offset1:196
	ds_store_2addr_b64 v2, v[22:23], v[20:21] offset1:108
	ds_store_2addr_b64 v53, v[18:19], v[16:17] offset0:88 offset1:196
	global_wb scope:SCOPE_SE
	s_wait_dscnt 0x0
	s_barrier_signal -1
	s_barrier_wait -1
	global_inv scope:SCOPE_SE
	ds_load_b64 v[54:55], v3
	ds_load_b64 v[68:69], v3 offset:3456
	ds_load_b64 v[66:67], v3 offset:6912
	ds_load_b64 v[64:65], v3 offset:10368
	ds_load_b64 v[62:63], v3 offset:13824
	ds_load_b64 v[58:59], v3 offset:17280
	ds_load_b64 v[60:61], v3 offset:20736
                                        ; implicit-def: $vgpr27
                                        ; implicit-def: $vgpr25
	s_and_saveexec_b32 s17, s2
	s_cbranch_execz .LBB0_12
; %bb.11:
	v_add_nc_u32_e32 v0, 0x2000, v3
	ds_load_b64 v[22:23], v3 offset:5472
	ds_load_b64 v[18:19], v3 offset:12384
	;; [unrolled: 1-line block ×4, first 2 shown]
	ds_load_2addr_b32 v[20:21], v0 offset0:184 offset1:185
	ds_load_b64 v[14:15], v4
	ds_load_b64 v[26:27], v3 offset:22752
.LBB0_12:
	s_wait_alu 0xfffe
	s_or_b32 exec_lo, exec_lo, s17
	v_and_b32_e32 v75, 0xffff, v72
	s_load_b64 s[0:1], s[0:1], 0x8
	s_and_not1_b32 vcc_lo, exec_lo, s3
	s_delay_alu instid0(VALU_DEP_1)
	v_mul_u32_u24_e32 v0, 6, v75
	v_mul_lo_u32 v2, v12, v75
	v_or_b32_e32 v79, 48, v75
	v_or_b32_e32 v78, 0x60, v75
	;; [unrolled: 1-line block ×3, first 2 shown]
	v_lshlrev_b32_e32 v0, 3, v0
	s_delay_alu instid0(VALU_DEP_4) | instskip(NEXT) | instid1(VALU_DEP_4)
	v_mul_lo_u32 v4, v12, v79
	v_mul_lo_u32 v6, v12, v78
	s_delay_alu instid0(VALU_DEP_4)
	v_mul_lo_u32 v8, v12, v81
	s_clause 0x2
	global_load_b128 v[90:93], v0, s[14:15] offset:208
	global_load_b128 v[82:85], v0, s[14:15] offset:176
	;; [unrolled: 1-line block ×3, first 2 shown]
	v_add_nc_u32_e32 v77, 24, v75
	v_add_nc_u32_e32 v76, 0x48, v75
	v_add_nc_u32_e32 v80, 0x78, v75
	v_and_b32_e32 v7, 0xff, v2
	v_lshrrev_b32_e32 v2, 5, v2
	v_mul_lo_u32 v3, v12, v77
	v_mul_lo_u32 v5, v12, v76
	;; [unrolled: 1-line block ×3, first 2 shown]
	v_and_b32_e32 v10, 0xff, v4
	v_and_b32_e32 v2, 0x7f8, v2
	v_lshrrev_b32_e32 v4, 5, v4
	v_and_b32_e32 v28, 0xff, v6
	v_lshrrev_b32_e32 v6, 5, v6
	;; [unrolled: 2-line block ×3, first 2 shown]
	v_and_b32_e32 v4, 0x7f8, v4
	s_delay_alu instid0(VALU_DEP_2)
	v_and_b32_e32 v3, 0x7f8, v3
	s_wait_loadcnt_dscnt 0x201
	v_mul_f32_e32 v124, v91, v59
	v_lshlrev_b32_e32 v7, 3, v7
	v_and_b32_e32 v11, 0xff, v5
	v_lshrrev_b32_e32 v5, 5, v5
	s_wait_dscnt 0x0
	v_dual_mul_f32 v125, v93, v61 :: v_dual_fmac_f32 v124, v90, v58
	s_wait_kmcnt 0x0
	s_clause 0x1
	global_load_b64 v[70:71], v7, s[0:1]
	global_load_b64 v[94:95], v2, s[0:1] offset:2048
	v_and_b32_e32 v29, 0xff, v0
	v_lshrrev_b32_e32 v0, 5, v0
	v_and_b32_e32 v2, 0xff, v8
	v_lshrrev_b32_e32 v7, 5, v8
	v_dual_mul_f32 v91, v91, v58 :: v_dual_lshlrev_b32 v8, 3, v9
	v_lshlrev_b32_e32 v9, 3, v10
	v_lshlrev_b32_e32 v10, 3, v11
	v_and_b32_e32 v5, 0x7f8, v5
	v_lshlrev_b32_e32 v11, 3, v28
	v_dual_fmac_f32 v125, v92, v60 :: v_dual_and_b32 v6, 0x7f8, v6
	v_lshlrev_b32_e32 v28, 3, v29
	v_and_b32_e32 v0, 0x7f8, v0
	v_lshlrev_b32_e32 v2, 3, v2
	v_and_b32_e32 v7, 0x7f8, v7
	s_clause 0xb
	global_load_b64 v[96:97], v8, s[0:1]
	global_load_b64 v[98:99], v3, s[0:1] offset:2048
	global_load_b64 v[100:101], v9, s[0:1]
	global_load_b64 v[102:103], v4, s[0:1] offset:2048
	;; [unrolled: 2-line block ×6, first 2 shown]
	v_lshrrev_b16 v0, 12, v1
	v_fma_f32 v59, v90, v59, -v91
	s_delay_alu instid0(VALU_DEP_2) | instskip(NEXT) | instid1(VALU_DEP_1)
	v_mul_lo_u16 v0, v0, 24
	v_sub_nc_u16 v0, v73, v0
	s_delay_alu instid0(VALU_DEP_1) | instskip(NEXT) | instid1(VALU_DEP_1)
	v_and_b32_e32 v0, 0xff, v0
	v_mul_lo_u32 v2, v12, v0
	v_add_nc_u32_e32 v3, 24, v0
	v_add_nc_u32_e32 v4, 48, v0
	;; [unrolled: 1-line block ×3, first 2 shown]
	v_or_b32_e32 v6, 0x60, v0
	v_mul_u32_u24_e32 v1, 6, v0
	v_add_nc_u32_e32 v7, 0x78, v0
	v_add_nc_u32_e32 v0, 0x90, v0
	v_mul_lo_u32 v28, v12, v3
	v_mul_lo_u32 v29, v12, v4
	v_and_b32_e32 v34, 0xff, v2
	v_mul_lo_u32 v30, v12, v5
	v_mul_lo_u32 v31, v12, v6
	v_lshrrev_b32_e32 v35, 5, v2
	v_mul_lo_u32 v32, v12, v7
	v_mul_lo_u32 v33, v12, v0
	v_lshlrev_b32_e32 v8, 3, v1
	v_lshlrev_b32_e32 v34, 3, v34
	v_and_b32_e32 v36, 0xff, v28
	v_and_b32_e32 v35, 0x7f8, v35
	v_lshrrev_b32_e32 v28, 5, v28
	v_and_b32_e32 v37, 0xff, v29
	v_lshrrev_b32_e32 v29, 5, v29
	;; [unrolled: 2-line block ×4, first 2 shown]
	s_clause 0x2
	global_load_b128 v[0:3], v8, s[14:15] offset:208
	global_load_b128 v[4:7], v8, s[14:15] offset:192
	;; [unrolled: 1-line block ×3, first 2 shown]
	v_and_b32_e32 v40, 0xff, v32
	v_lshrrev_b32_e32 v32, 5, v32
	v_and_b32_e32 v41, 0xff, v33
	v_lshrrev_b32_e32 v33, 5, v33
	s_clause 0x1
	global_load_b64 v[46:47], v34, s[0:1]
	global_load_b64 v[48:49], v35, s[0:1] offset:2048
	v_lshlrev_b32_e32 v34, 3, v36
	v_and_b32_e32 v28, 0x7f8, v28
	v_lshlrev_b32_e32 v35, 3, v37
	v_and_b32_e32 v29, 0x7f8, v29
	;; [unrolled: 2-line block ×5, first 2 shown]
	s_wait_loadcnt 0x7
	v_dual_mul_f32 v90, v113, v115 :: v_dual_and_b32 v123, 0x7f8, v33
	v_dual_mul_f32 v91, v112, v115 :: v_dual_lshlrev_b32 v122, 3, v41
	s_clause 0xb
	global_load_b64 v[36:37], v34, s[0:1]
	global_load_b64 v[44:45], v28, s[0:1] offset:2048
	global_load_b64 v[38:39], v35, s[0:1]
	global_load_b64 v[56:57], v29, s[0:1] offset:2048
	;; [unrolled: 2-line block ×6, first 2 shown]
	v_mul_f32_e32 v120, v83, v69
	v_mul_f32_e32 v83, v83, v68
	;; [unrolled: 1-line block ×3, first 2 shown]
	v_dual_mul_f32 v85, v85, v66 :: v_dual_mul_f32 v122, v87, v65
	s_delay_alu instid0(VALU_DEP_4) | instskip(NEXT) | instid1(VALU_DEP_4)
	v_fmac_f32_e32 v120, v82, v68
	v_fma_f32 v68, v82, v69, -v83
	v_mul_f32_e32 v69, v93, v60
	v_mul_f32_e32 v87, v87, v64
	;; [unrolled: 1-line block ×4, first 2 shown]
	v_fmac_f32_e32 v121, v84, v66
	v_fma_f32 v66, v84, v67, -v85
	v_fma_f32 v58, v92, v61, -v69
	v_fmac_f32_e32 v122, v86, v64
	v_fma_f32 v64, v86, v65, -v87
	v_fmac_f32_e32 v123, v88, v62
	v_fma_f32 v62, v88, v63, -v89
	v_mul_f32_e32 v60, v71, v95
	v_mul_f32_e32 v61, v70, v95
	v_add_f32_e32 v63, v120, v125
	v_add_f32_e32 v65, v68, v58
	v_sub_f32_e32 v58, v68, v58
	v_dual_add_f32 v68, v121, v124 :: v_dual_add_f32 v69, v66, v59
	v_sub_f32_e32 v59, v66, v59
	v_add_f32_e32 v66, v122, v123
	v_add_f32_e32 v84, v64, v62
	v_sub_f32_e32 v62, v62, v64
	v_fma_f32 v60, v70, v94, -v60
	v_dual_fmac_f32 v61, v71, v94 :: v_dual_mul_f32 v64, v97, v99
	v_dual_add_f32 v94, v68, v63 :: v_dual_add_f32 v95, v69, v65
	v_dual_sub_f32 v67, v120, v125 :: v_dual_sub_f32 v82, v121, v124
	v_sub_f32_e32 v83, v123, v122
	v_mul_f32_e32 v71, v96, v99
	v_mul_f32_e32 v70, v101, v103
	;; [unrolled: 1-line block ×5, first 2 shown]
	v_sub_f32_e32 v99, v68, v63
	v_sub_f32_e32 v63, v63, v66
	;; [unrolled: 1-line block ×5, first 2 shown]
	v_add_f32_e32 v111, v62, v59
	v_sub_f32_e32 v69, v84, v69
	v_fma_f32 v96, v96, v98, -v64
	v_add_f32_e32 v64, v66, v94
	v_add_f32_e32 v66, v84, v95
	v_mul_f32_e32 v86, v105, v107
	v_mul_f32_e32 v87, v104, v107
	s_wait_loadcnt 0x11
	v_mul_f32_e32 v92, v117, v119
	v_mul_f32_e32 v93, v116, v119
	v_add_f32_e32 v107, v83, v82
	v_sub_f32_e32 v119, v62, v59
	v_sub_f32_e32 v62, v58, v62
	;; [unrolled: 1-line block ×3, first 2 shown]
	v_dual_sub_f32 v115, v83, v82 :: v_dual_sub_f32 v82, v82, v67
	v_add_f32_e32 v58, v111, v58
	v_dual_mul_f32 v84, 0x3d64c772, v69 :: v_dual_add_f32 v55, v66, v55
	v_dual_sub_f32 v83, v67, v83 :: v_dual_add_f32 v54, v64, v54
	v_fmac_f32_e32 v71, v97, v98
	v_fma_f32 v97, v100, v102, -v70
	v_dual_mul_f32 v70, 0x3d64c772, v68 :: v_dual_add_f32 v67, v107, v67
	v_fmamk_f32 v66, v66, 0xbf955555, v55
	v_mul_f32_e32 v98, 0xbf5ff5aa, v82
	v_mul_f32_e32 v100, 0xbf5ff5aa, v59
	;; [unrolled: 1-line block ×3, first 2 shown]
	v_fma_f32 v84, 0x3f3bfb3b, v103, -v84
	v_mul_f32_e32 v65, 0x3f4a47b2, v65
	v_dual_fmac_f32 v85, v101, v102 :: v_dual_fmamk_f32 v64, v64, 0xbf955555, v54
	s_delay_alu instid0(VALU_DEP_4)
	v_fma_f32 v82, 0xbf5ff5aa, v82, -v94
	v_fmamk_f32 v94, v83, 0xbeae86e6, v94
	v_fma_f32 v83, 0x3eae86e6, v83, -v98
	v_dual_add_f32 v84, v84, v66 :: v_dual_fmamk_f32 v69, v69, 0x3d64c772, v65
	v_fma_f32 v65, 0xbf3bfb3b, v103, -v65
	v_mul_f32_e32 v95, 0x3f08b237, v119
	v_dual_fmac_f32 v89, v109, v110 :: v_dual_fmac_f32 v82, 0xbee1c552, v67
	v_fma_f32 v70, 0x3f3bfb3b, v99, -v70
	v_mul_f32_e32 v63, 0x3f4a47b2, v63
	s_delay_alu instid0(VALU_DEP_4)
	v_fma_f32 v59, 0xbf5ff5aa, v59, -v95
	v_fmac_f32_e32 v83, 0xbee1c552, v67
	v_fmamk_f32 v95, v62, 0xbeae86e6, v95
	v_fma_f32 v62, 0x3eae86e6, v62, -v100
	v_dual_add_f32 v70, v70, v64 :: v_dual_fmamk_f32 v101, v68, 0x3d64c772, v63
	v_fma_f32 v63, 0xbf3bfb3b, v99, -v63
	v_dual_fmac_f32 v87, v105, v106 :: v_dual_fmac_f32 v94, 0xbee1c552, v67
	s_delay_alu instid0(VALU_DEP_4)
	v_fmac_f32_e32 v62, 0xbee1c552, v58
	v_dual_fmac_f32 v91, v113, v114 :: v_dual_mul_f32 v68, v55, v61
	v_fmac_f32_e32 v93, v117, v118
	v_dual_fmac_f32 v95, 0xbee1c552, v58 :: v_dual_add_f32 v100, v82, v84
	v_dual_fmac_f32 v59, 0xbee1c552, v58 :: v_dual_mul_f32 v58, v54, v61
	v_add_f32_e32 v63, v63, v64
	v_fmac_f32_e32 v68, v54, v60
	v_add_f32_e32 v61, v101, v64
	v_add_f32_e32 v64, v65, v66
	v_sub_f32_e32 v82, v84, v82
	v_sub_f32_e32 v84, v63, v62
	v_fma_f32 v86, v104, v106, -v86
	v_dual_add_f32 v54, v95, v61 :: v_dual_add_f32 v67, v69, v66
	v_fma_f32 v69, v55, v60, -v58
	v_sub_f32_e32 v98, v64, v83
	v_fma_f32 v88, v108, v110, -v88
	v_fma_f32 v90, v112, v114, -v90
	v_dual_sub_f32 v55, v67, v94 :: v_dual_add_f32 v94, v94, v67
	s_delay_alu instid0(VALU_DEP_4)
	v_dual_add_f32 v83, v83, v64 :: v_dual_mul_f32 v66, v98, v85
	v_sub_f32_e32 v99, v70, v59
	v_dual_add_f32 v59, v59, v70 :: v_dual_mul_f32 v64, v100, v87
	v_add_f32_e32 v65, v62, v63
	v_mul_f32_e32 v70, v55, v71
	v_sub_f32_e32 v61, v61, v95
	v_fma_f32 v92, v116, v118, -v92
	v_mul_f32_e32 v62, v82, v89
	v_mul_f32_e32 v63, v54, v71
	;; [unrolled: 1-line block ×4, first 2 shown]
	v_fmac_f32_e32 v70, v54, v96
	v_fmac_f32_e32 v62, v59, v88
	v_dual_fmac_f32 v64, v99, v86 :: v_dual_mul_f32 v67, v65, v85
	v_dual_fmac_f32 v66, v65, v97 :: v_dual_mul_f32 v85, v99, v87
	;; [unrolled: 1-line block ×4, first 2 shown]
	v_mul_f32_e32 v91, v61, v93
	v_fma_f32 v71, v55, v96, -v63
	v_fma_f32 v67, v98, v97, -v67
	;; [unrolled: 1-line block ×6, first 2 shown]
	s_wait_alu 0xfffe
	s_cbranch_vccnz .LBB0_14
; %bb.13:
	v_mad_co_u64_u32 v[54:55], null, s4, v74, 0
	v_mad_co_u64_u32 v[82:83], null, s8, v75, 0
	;; [unrolled: 1-line block ×3, first 2 shown]
	s_lshl_b64 s[0:1], s[6:7], 3
	s_and_b32 s16, s2, exec_lo
	s_wait_loadcnt 0x8
	s_delay_alu instid0(VALU_DEP_3) | instskip(SKIP_1) | instid1(VALU_DEP_3)
	v_mad_co_u64_u32 v[86:87], null, s5, v74, v[55:56]
	v_mad_co_u64_u32 v[87:88], null, s8, v79, 0
	;; [unrolled: 1-line block ×3, first 2 shown]
	s_add_nc_u64 s[0:1], s[12:13], s[0:1]
	s_delay_alu instid0(VALU_DEP_2) | instskip(NEXT) | instid1(VALU_DEP_2)
	v_dual_mov_b32 v55, v86 :: v_dual_mov_b32 v86, v88
	v_mov_b32_e32 v83, v89
	s_delay_alu instid0(VALU_DEP_2) | instskip(NEXT) | instid1(VALU_DEP_3)
	v_lshlrev_b64_e32 v[54:55], 3, v[54:55]
	v_mad_co_u64_u32 v[88:89], null, s9, v77, v[85:86]
	v_mad_co_u64_u32 v[89:90], null, s9, v79, v[86:87]
	;; [unrolled: 1-line block ×3, first 2 shown]
	s_delay_alu instid0(VALU_DEP_4) | instskip(NEXT) | instid1(VALU_DEP_4)
	v_add_co_u32 v54, vcc_lo, s0, v54
	v_mov_b32_e32 v85, v88
	s_wait_alu 0xfffd
	v_add_co_ci_u32_e32 v55, vcc_lo, s1, v55, vcc_lo
	v_mov_b32_e32 v88, v89
	v_lshlrev_b64_e32 v[82:83], 3, v[82:83]
	v_lshlrev_b64_e32 v[84:85], 3, v[84:85]
	s_delay_alu instid0(VALU_DEP_2) | instskip(SKIP_1) | instid1(VALU_DEP_3)
	v_add_co_u32 v82, vcc_lo, v54, v82
	s_wait_alu 0xfffd
	v_add_co_ci_u32_e32 v83, vcc_lo, v55, v83, vcc_lo
	global_store_b64 v[82:83], v[68:69], off
	v_add_co_u32 v82, vcc_lo, v54, v84
	s_wait_alu 0xfffd
	v_add_co_ci_u32_e32 v83, vcc_lo, v55, v85, vcc_lo
	v_lshlrev_b64_e32 v[84:85], 3, v[87:88]
	v_mad_co_u64_u32 v[86:87], null, s8, v78, 0
	global_store_b64 v[82:83], v[70:71], off
	v_mov_b32_e32 v82, v91
	v_add_co_u32 v83, vcc_lo, v54, v84
	s_wait_alu 0xfffd
	v_add_co_ci_u32_e32 v84, vcc_lo, v55, v85, vcc_lo
	v_mov_b32_e32 v85, v87
	s_delay_alu instid0(VALU_DEP_3)
	v_mad_co_u64_u32 v[87:88], null, s9, v76, v[82:83]
	v_mad_co_u64_u32 v[88:89], null, s8, v80, 0
	global_store_b64 v[83:84], v[66:67], off
	v_dual_mov_b32 v91, v87 :: v_dual_mov_b32 v82, v89
	v_mad_co_u64_u32 v[92:93], null, s9, v78, v[85:86]
	v_mad_co_u64_u32 v[93:94], null, s8, v81, 0
	s_delay_alu instid0(VALU_DEP_3) | instskip(NEXT) | instid1(VALU_DEP_3)
	v_lshlrev_b64_e32 v[83:84], 3, v[90:91]
	v_mov_b32_e32 v87, v92
	s_delay_alu instid0(VALU_DEP_3) | instskip(NEXT) | instid1(VALU_DEP_3)
	v_mov_b32_e32 v85, v94
	v_mad_co_u64_u32 v[89:90], null, s9, v80, v[82:83]
	s_delay_alu instid0(VALU_DEP_3) | instskip(SKIP_3) | instid1(VALU_DEP_3)
	v_lshlrev_b64_e32 v[86:87], 3, v[86:87]
	v_add_co_u32 v82, vcc_lo, v54, v83
	s_wait_alu 0xfffd
	v_add_co_ci_u32_e32 v83, vcc_lo, v55, v84, vcc_lo
	v_mad_co_u64_u32 v[90:91], null, s9, v81, v[85:86]
	v_add_co_u32 v84, vcc_lo, v54, v86
	s_wait_alu 0xfffd
	v_add_co_ci_u32_e32 v85, vcc_lo, v55, v87, vcc_lo
	global_store_b64 v[82:83], v[64:65], off
	v_lshlrev_b64_e32 v[82:83], 3, v[88:89]
	v_mov_b32_e32 v94, v90
	global_store_b64 v[84:85], v[62:63], off
	v_lshlrev_b64_e32 v[84:85], 3, v[93:94]
	v_add_co_u32 v82, vcc_lo, v54, v82
	s_wait_alu 0xfffd
	v_add_co_ci_u32_e32 v83, vcc_lo, v55, v83, vcc_lo
	s_delay_alu instid0(VALU_DEP_3)
	v_add_co_u32 v84, vcc_lo, v54, v84
	s_wait_alu 0xfffd
	v_add_co_ci_u32_e32 v85, vcc_lo, v55, v85, vcc_lo
	s_clause 0x1
	global_store_b64 v[82:83], v[58:59], off
	global_store_b64 v[84:85], v[60:61], off
	s_cbranch_execz .LBB0_15
	s_branch .LBB0_18
.LBB0_14:
                                        ; implicit-def: $vgpr54_vgpr55
.LBB0_15:
	s_mov_b32 s0, exec_lo
                                        ; implicit-def: $vgpr54_vgpr55
	v_cmpx_gt_u64_e64 s[10:11], v[12:13]
	s_cbranch_execz .LBB0_17
; %bb.16:
	v_mad_co_u64_u32 v[12:13], null, s4, v74, 0
	v_mad_co_u64_u32 v[54:55], null, s8, v75, 0
	;; [unrolled: 1-line block ×3, first 2 shown]
	s_wait_alu 0xfffe
	s_and_not1_b32 s1, s16, exec_lo
	s_and_b32 s2, s2, exec_lo
	s_delay_alu instid0(VALU_DEP_3) | instskip(SKIP_1) | instid1(VALU_DEP_3)
	v_mad_co_u64_u32 v[84:85], null, s5, v74, v[13:14]
	s_wait_loadcnt 0x8
	v_mad_co_u64_u32 v[74:75], null, s9, v75, v[55:56]
	v_mad_co_u64_u32 v[85:86], null, s8, v79, 0
	v_mov_b32_e32 v75, v83
	s_lshl_b64 s[4:5], s[6:7], 3
	s_wait_alu 0xfffe
	s_or_b32 s16, s1, s2
	s_add_nc_u64 s[4:5], s[12:13], s[4:5]
	s_delay_alu instid0(VALU_DEP_3) | instskip(SKIP_2) | instid1(VALU_DEP_1)
	v_mov_b32_e32 v55, v74
	v_mad_co_u64_u32 v[74:75], null, s9, v77, v[75:76]
	v_mov_b32_e32 v83, v86
	v_mad_co_u64_u32 v[86:87], null, s9, v79, v[83:84]
	s_delay_alu instid0(VALU_DEP_3) | instskip(SKIP_1) | instid1(VALU_DEP_2)
	v_mov_b32_e32 v83, v74
	v_lshlrev_b64_e32 v[87:88], 3, v[54:55]
	v_lshlrev_b64_e32 v[74:75], 3, v[82:83]
	v_mad_co_u64_u32 v[82:83], null, s8, v76, 0
	v_mov_b32_e32 v13, v84
	s_delay_alu instid0(VALU_DEP_1) | instskip(SKIP_1) | instid1(VALU_DEP_1)
	v_lshlrev_b64_e32 v[12:13], 3, v[12:13]
	s_wait_alu 0xfffe
	v_add_co_u32 v54, vcc_lo, s4, v12
	s_wait_alu 0xfffd
	s_delay_alu instid0(VALU_DEP_2) | instskip(NEXT) | instid1(VALU_DEP_2)
	v_add_co_ci_u32_e32 v55, vcc_lo, s5, v13, vcc_lo
	v_add_co_u32 v12, vcc_lo, v54, v87
	s_wait_alu 0xfffd
	s_delay_alu instid0(VALU_DEP_2)
	v_add_co_ci_u32_e32 v13, vcc_lo, v55, v88, vcc_lo
	global_store_b64 v[12:13], v[68:69], off
	v_add_co_u32 v12, vcc_lo, v54, v74
	s_wait_alu 0xfffd
	v_add_co_ci_u32_e32 v13, vcc_lo, v55, v75, vcc_lo
	v_mad_co_u64_u32 v[74:75], null, s8, v78, 0
	v_lshlrev_b64_e32 v[68:69], 3, v[85:86]
	global_store_b64 v[12:13], v[70:71], off
	v_dual_mov_b32 v12, v83 :: v_dual_mov_b32 v13, v75
	v_add_co_u32 v68, vcc_lo, v54, v68
	s_wait_alu 0xfffd
	v_add_co_ci_u32_e32 v69, vcc_lo, v55, v69, vcc_lo
	s_delay_alu instid0(VALU_DEP_3) | instskip(SKIP_3) | instid1(VALU_DEP_4)
	v_mad_co_u64_u32 v[70:71], null, s9, v76, v[12:13]
	v_mad_co_u64_u32 v[76:77], null, s8, v80, 0
	;; [unrolled: 1-line block ×4, first 2 shown]
	v_mov_b32_e32 v83, v70
	global_store_b64 v[68:69], v[66:67], off
	v_mov_b32_e32 v13, v77
	v_mov_b32_e32 v75, v12
	v_lshlrev_b64_e32 v[66:67], 3, v[82:83]
	v_mov_b32_e32 v12, v79
	s_delay_alu instid0(VALU_DEP_4) | instskip(NEXT) | instid1(VALU_DEP_4)
	v_mad_co_u64_u32 v[68:69], null, s9, v80, v[13:14]
	v_lshlrev_b64_e32 v[69:70], 3, v[74:75]
	s_delay_alu instid0(VALU_DEP_3)
	v_mad_co_u64_u32 v[12:13], null, s9, v81, v[12:13]
	v_add_co_u32 v66, vcc_lo, v54, v66
	s_wait_alu 0xfffd
	v_add_co_ci_u32_e32 v67, vcc_lo, v55, v67, vcc_lo
	v_mov_b32_e32 v77, v68
	v_add_co_u32 v68, vcc_lo, v54, v69
	s_wait_alu 0xfffd
	v_add_co_ci_u32_e32 v69, vcc_lo, v55, v70, vcc_lo
	v_mov_b32_e32 v79, v12
	v_lshlrev_b64_e32 v[12:13], 3, v[76:77]
	s_clause 0x1
	global_store_b64 v[66:67], v[64:65], off
	global_store_b64 v[68:69], v[62:63], off
	v_lshlrev_b64_e32 v[62:63], 3, v[78:79]
	v_add_co_u32 v12, vcc_lo, v54, v12
	s_wait_alu 0xfffd
	v_add_co_ci_u32_e32 v13, vcc_lo, v55, v13, vcc_lo
	s_delay_alu instid0(VALU_DEP_3)
	v_add_co_u32 v62, vcc_lo, v54, v62
	s_wait_alu 0xfffd
	v_add_co_ci_u32_e32 v63, vcc_lo, v55, v63, vcc_lo
	s_clause 0x1
	global_store_b64 v[12:13], v[58:59], off
	global_store_b64 v[62:63], v[60:61], off
.LBB0_17:
	s_wait_alu 0xfffe
	s_or_b32 exec_lo, exec_lo, s0
.LBB0_18:
	s_wait_alu 0xfffe
	s_and_saveexec_b32 s0, s16
	s_cbranch_execnz .LBB0_20
; %bb.19:
	s_nop 0
	s_sendmsg sendmsg(MSG_DEALLOC_VGPRS)
	s_endpgm
.LBB0_20:
	s_wait_loadcnt 0xe
	v_dual_mul_f32 v12, v23, v9 :: v_dual_mul_f32 v13, v21, v11
	v_mul_f32_e32 v9, v22, v9
	s_delay_alu instid0(VALU_DEP_2) | instskip(SKIP_1) | instid1(VALU_DEP_3)
	v_dual_mul_f32 v11, v20, v11 :: v_dual_fmac_f32 v12, v22, v8
	v_mul_f32_e32 v22, v17, v7
	v_fma_f32 v8, v23, v8, -v9
	v_mul_f32_e32 v9, v19, v5
	v_mul_f32_e32 v5, v18, v5
	v_fmac_f32_e32 v13, v20, v10
	v_fma_f32 v10, v21, v10, -v11
	s_delay_alu instid0(VALU_DEP_4) | instskip(NEXT) | instid1(VALU_DEP_4)
	v_dual_fmac_f32 v22, v16, v6 :: v_dual_fmac_f32 v9, v18, v4
	v_fma_f32 v4, v19, v4, -v5
	v_mul_f32_e32 v11, v25, v1
	v_mul_f32_e32 v1, v24, v1
	;; [unrolled: 1-line block ×3, first 2 shown]
	s_delay_alu instid0(VALU_DEP_3) | instskip(NEXT) | instid1(VALU_DEP_3)
	v_fmac_f32_e32 v11, v24, v0
	v_fma_f32 v0, v25, v0, -v1
	v_mul_f32_e32 v5, v27, v3
	v_mul_f32_e32 v3, v26, v3
	s_delay_alu instid0(VALU_DEP_2) | instskip(NEXT) | instid1(VALU_DEP_2)
	v_fmac_f32_e32 v5, v26, v2
	v_fma_f32 v2, v27, v2, -v3
	v_fma_f32 v3, v17, v6, -v7
	s_delay_alu instid0(VALU_DEP_2)
	v_add_f32_e32 v6, v8, v2
	v_sub_f32_e32 v2, v8, v2
	v_add_f32_e32 v8, v10, v0
	v_sub_f32_e32 v0, v10, v0
	v_dual_add_f32 v10, v9, v22 :: v_dual_sub_f32 v9, v22, v9
	v_add_f32_e32 v1, v12, v5
	v_sub_f32_e32 v5, v12, v5
	v_add_f32_e32 v12, v4, v3
	v_add_f32_e32 v7, v13, v11
	s_delay_alu instid0(VALU_DEP_1) | instskip(SKIP_1) | instid1(VALU_DEP_4)
	v_dual_sub_f32 v17, v8, v6 :: v_dual_sub_f32 v16, v7, v1
	v_sub_f32_e32 v11, v13, v11
	v_dual_add_f32 v13, v8, v6 :: v_dual_sub_f32 v6, v6, v12
	v_sub_f32_e32 v3, v3, v4
	v_sub_f32_e32 v8, v12, v8
	s_delay_alu instid0(VALU_DEP_2)
	v_dual_mul_f32 v6, 0x3f4a47b2, v6 :: v_dual_add_f32 v19, v3, v0
	v_dual_sub_f32 v21, v3, v0 :: v_dual_sub_f32 v0, v0, v2
	v_sub_f32_e32 v20, v9, v11
	v_dual_add_f32 v4, v7, v1 :: v_dual_sub_f32 v1, v1, v10
	v_sub_f32_e32 v7, v10, v7
	v_sub_f32_e32 v3, v2, v3
	s_delay_alu instid0(VALU_DEP_3) | instskip(SKIP_2) | instid1(VALU_DEP_3)
	v_add_f32_e32 v4, v10, v4
	v_add_f32_e32 v10, v12, v13
	;; [unrolled: 1-line block ×4, first 2 shown]
	s_delay_alu instid0(VALU_DEP_1) | instskip(SKIP_2) | instid1(VALU_DEP_3)
	v_dual_fmamk_f32 v4, v4, 0xbf955555, v12 :: v_dual_add_f32 v13, v15, v10
	v_sub_f32_e32 v9, v5, v9
	v_dual_mul_f32 v15, 0x3d64c772, v8 :: v_dual_fmamk_f32 v8, v8, 0x3d64c772, v6
	v_dual_fmamk_f32 v10, v10, 0xbf955555, v13 :: v_dual_sub_f32 v11, v11, v5
	v_dual_add_f32 v5, v18, v5 :: v_dual_mul_f32 v18, 0x3f08b237, v20
	s_delay_alu instid0(VALU_DEP_2) | instskip(NEXT) | instid1(VALU_DEP_3)
	v_add_f32_e32 v8, v8, v10
	v_mul_f32_e32 v20, 0xbf5ff5aa, v11
	v_add_f32_e32 v2, v19, v2
	v_mul_f32_e32 v14, 0x3d64c772, v7
	v_fma_f32 v6, 0xbf3bfb3b, v17, -v6
	v_mul_f32_e32 v1, 0x3f4a47b2, v1
	v_fma_f32 v15, 0x3f3bfb3b, v17, -v15
	s_delay_alu instid0(VALU_DEP_4) | instskip(NEXT) | instid1(VALU_DEP_3)
	v_fma_f32 v14, 0x3f3bfb3b, v16, -v14
	v_fmamk_f32 v7, v7, 0x3d64c772, v1
	v_fma_f32 v1, 0xbf3bfb3b, v16, -v1
	v_fmamk_f32 v16, v9, 0xbeae86e6, v18
	v_fma_f32 v9, 0x3eae86e6, v9, -v20
	v_add_f32_e32 v14, v14, v4
	v_add_f32_e32 v7, v7, v4
	s_delay_alu instid0(VALU_DEP_4) | instskip(SKIP_3) | instid1(VALU_DEP_4)
	v_dual_add_f32 v1, v1, v4 :: v_dual_fmac_f32 v16, 0xbee1c552, v5
	v_dual_mul_f32 v19, 0x3f08b237, v21 :: v_dual_add_f32 v4, v6, v10
	v_fmac_f32_e32 v9, 0xbee1c552, v5
	v_mul_f32_e32 v21, 0xbf5ff5aa, v0
	v_sub_f32_e32 v6, v8, v16
	s_delay_alu instid0(VALU_DEP_4) | instskip(SKIP_3) | instid1(VALU_DEP_4)
	v_fma_f32 v0, 0xbf5ff5aa, v0, -v19
	v_fma_f32 v11, 0xbf5ff5aa, v11, -v18
	v_dual_sub_f32 v18, v4, v9 :: v_dual_add_f32 v15, v15, v10
	v_add_f32_e32 v22, v9, v4
	v_fmac_f32_e32 v0, 0xbee1c552, v2
	v_fmamk_f32 v17, v3, 0xbeae86e6, v19
	v_fma_f32 v3, 0x3eae86e6, v3, -v21
	v_dual_fmac_f32 v11, 0xbee1c552, v5 :: v_dual_add_f32 v24, v16, v8
	s_delay_alu instid0(VALU_DEP_4) | instskip(NEXT) | instid1(VALU_DEP_4)
	v_dual_sub_f32 v19, v14, v0 :: v_dual_add_f32 v14, v0, v14
	v_fmac_f32_e32 v17, 0xbee1c552, v2
	s_wait_loadcnt 0xc
	v_dual_fmac_f32 v3, 0xbee1c552, v2 :: v_dual_mul_f32 v0, v47, v49
	v_mul_f32_e32 v2, v46, v49
	s_wait_loadcnt 0x8
	v_mul_f32_e32 v8, v39, v57
	s_delay_alu instid0(VALU_DEP_3) | instskip(NEXT) | instid1(VALU_DEP_3)
	v_dual_add_f32 v10, v3, v1 :: v_dual_sub_f32 v21, v1, v3
	v_dual_fmac_f32 v2, v47, v48 :: v_dual_mul_f32 v3, v36, v45
	v_add_f32_e32 v20, v11, v15
	v_add_f32_e32 v5, v17, v7
	v_fma_f32 v1, v46, v48, -v0
	s_delay_alu instid0(VALU_DEP_4)
	v_dual_mul_f32 v0, v13, v2 :: v_dual_sub_f32 v15, v15, v11
	v_dual_mul_f32 v2, v12, v2 :: v_dual_fmac_f32 v3, v37, v44
	v_sub_f32_e32 v23, v7, v17
	s_wait_loadcnt 0x6
	v_mul_f32_e32 v11, v42, v53
	s_wait_loadcnt 0x2
	v_mul_f32_e32 v17, v32, v35
	v_fmac_f32_e32 v0, v12, v1
	v_fma_f32 v1, v13, v1, -v2
	v_mul_f32_e32 v2, v6, v3
	v_mul_f32_e32 v12, v41, v51
	v_fmac_f32_e32 v17, v33, v34
	v_fmac_f32_e32 v11, v43, v52
	v_mul_f32_e32 v7, v38, v57
	v_mul_f32_e32 v4, v37, v45
	v_fma_f32 v8, v38, v56, -v8
	v_fma_f32 v16, v40, v50, -v12
	s_delay_alu instid0(VALU_DEP_4) | instskip(NEXT) | instid1(VALU_DEP_4)
	v_dual_mul_f32 v12, v33, v35 :: v_dual_fmac_f32 v7, v39, v56
	v_fma_f32 v9, v36, v44, -v4
	s_delay_alu instid0(VALU_DEP_2) | instskip(SKIP_1) | instid1(VALU_DEP_3)
	v_mul_f32_e32 v4, v18, v7
	v_mul_f32_e32 v3, v5, v3
	v_dual_fmac_f32 v2, v5, v9 :: v_dual_mul_f32 v7, v10, v7
	s_delay_alu instid0(VALU_DEP_3) | instskip(NEXT) | instid1(VALU_DEP_3)
	v_dual_mul_f32 v5, v43, v53 :: v_dual_fmac_f32 v4, v10, v8
	v_fma_f32 v3, v6, v9, -v3
	v_mul_f32_e32 v9, v40, v51
	s_delay_alu instid0(VALU_DEP_3) | instskip(SKIP_1) | instid1(VALU_DEP_3)
	v_fma_f32 v10, v42, v52, -v5
	v_fma_f32 v5, v18, v8, -v7
	v_dual_fmac_f32 v9, v41, v50 :: v_dual_add_nc_u32 v18, 38, v72
	s_delay_alu instid0(VALU_DEP_1) | instskip(SKIP_1) | instid1(VALU_DEP_2)
	v_mul_f32_e32 v8, v15, v9
	v_mul_f32_e32 v9, v14, v9
	v_fmac_f32_e32 v8, v14, v16
	v_mul_f32_e32 v14, v22, v17
	v_mul_f32_e32 v6, v20, v11
	;; [unrolled: 1-line block ×3, first 2 shown]
	s_delay_alu instid0(VALU_DEP_2) | instskip(NEXT) | instid1(VALU_DEP_2)
	v_fmac_f32_e32 v6, v19, v10
	v_fma_f32 v7, v20, v10, -v11
	v_mad_co_u64_u32 v[10:11], null, s8, v73, 0
	v_fma_f32 v19, v32, v34, -v12
	v_mad_co_u64_u32 v[12:13], null, s8, v18, 0
	s_wait_loadcnt 0x0
	v_mul_f32_e32 v20, v28, v31
	s_delay_alu instid0(VALU_DEP_3) | instskip(SKIP_1) | instid1(VALU_DEP_3)
	v_fmac_f32_e32 v14, v21, v19
	v_fma_f32 v9, v15, v16, -v9
	v_fmac_f32_e32 v20, v29, v30
	v_mad_co_u64_u32 v[15:16], null, s9, v73, v[11:12]
	v_mov_b32_e32 v11, v13
	v_mul_f32_e32 v13, v21, v17
	v_mul_f32_e32 v21, v29, v31
	s_delay_alu instid0(VALU_DEP_3) | instskip(SKIP_1) | instid1(VALU_DEP_4)
	v_mad_co_u64_u32 v[16:17], null, s9, v18, v[11:12]
	v_mov_b32_e32 v11, v15
	v_fma_f32 v15, v22, v19, -v13
	v_mul_f32_e32 v17, v24, v20
	s_delay_alu instid0(VALU_DEP_4) | instskip(SKIP_3) | instid1(VALU_DEP_4)
	v_dual_mul_f32 v22, v23, v20 :: v_dual_mov_b32 v13, v16
	v_add_nc_u32_e32 v16, 0x56, v72
	v_fma_f32 v18, v28, v30, -v21
	v_add_nc_u32_e32 v21, 62, v72
	v_lshlrev_b64_e32 v[12:13], 3, v[12:13]
	s_delay_alu instid0(VALU_DEP_3) | instskip(SKIP_4) | instid1(VALU_DEP_2)
	v_fmac_f32_e32 v17, v23, v18
	v_fma_f32 v18, v24, v18, -v22
	v_add_nc_u32_e32 v24, 0x86, v72
	v_lshlrev_b64_e32 v[10:11], 3, v[10:11]
	v_mad_co_u64_u32 v[19:20], null, s8, v21, 0
	v_add_co_u32 v10, vcc_lo, v54, v10
	s_wait_alu 0xfffd
	s_delay_alu instid0(VALU_DEP_3)
	v_add_co_ci_u32_e32 v11, vcc_lo, v55, v11, vcc_lo
	global_store_b64 v[10:11], v[0:1], off
	v_add_co_u32 v10, vcc_lo, v54, v12
	v_mov_b32_e32 v0, v20
	s_wait_alu 0xfffd
	v_add_co_ci_u32_e32 v11, vcc_lo, v55, v13, vcc_lo
	v_mad_co_u64_u32 v[12:13], null, s8, v16, 0
	s_delay_alu instid0(VALU_DEP_3) | instskip(SKIP_4) | instid1(VALU_DEP_2)
	v_mad_co_u64_u32 v[0:1], null, s9, v21, v[0:1]
	global_store_b64 v[10:11], v[2:3], off
	v_mad_co_u64_u32 v[10:11], null, s8, v24, 0
	v_dual_mov_b32 v20, v0 :: v_dual_add_nc_u32 v23, 0x6e, v72
	v_mov_b32_e32 v0, v13
	v_mad_co_u64_u32 v[1:2], null, s8, v23, 0
	s_delay_alu instid0(VALU_DEP_3) | instskip(NEXT) | instid1(VALU_DEP_2)
	v_lshlrev_b64_e32 v[19:20], 3, v[19:20]
	v_mad_co_u64_u32 v[21:22], null, s9, v16, v[0:1]
	v_mov_b32_e32 v0, v11
	v_add_nc_u32_e32 v16, 0x9e, v72
	v_mad_co_u64_u32 v[2:3], null, s9, v23, v[2:3]
	v_add_co_u32 v19, vcc_lo, v54, v19
	s_delay_alu instid0(VALU_DEP_3) | instskip(SKIP_1) | instid1(VALU_DEP_4)
	v_mad_co_u64_u32 v[22:23], null, s8, v16, 0
	v_mad_co_u64_u32 v[24:25], null, s9, v24, v[0:1]
	v_lshlrev_b64_e32 v[1:2], 3, v[1:2]
	s_wait_alu 0xfffd
	v_add_co_ci_u32_e32 v20, vcc_lo, v55, v20, vcc_lo
	s_delay_alu instid0(VALU_DEP_4) | instskip(SKIP_4) | instid1(VALU_DEP_3)
	v_dual_mov_b32 v13, v21 :: v_dual_mov_b32 v0, v23
	global_store_b64 v[19:20], v[4:5], off
	v_mov_b32_e32 v11, v24
	v_lshlrev_b64_e32 v[3:4], 3, v[12:13]
	v_mad_co_u64_u32 v[12:13], null, s9, v16, v[0:1]
	v_lshlrev_b64_e32 v[10:11], 3, v[10:11]
	s_delay_alu instid0(VALU_DEP_3) | instskip(SKIP_1) | instid1(VALU_DEP_4)
	v_add_co_u32 v3, vcc_lo, v54, v3
	s_wait_alu 0xfffd
	v_add_co_ci_u32_e32 v4, vcc_lo, v55, v4, vcc_lo
	s_delay_alu instid0(VALU_DEP_4) | instskip(SKIP_3) | instid1(VALU_DEP_3)
	v_mov_b32_e32 v23, v12
	v_add_co_u32 v0, vcc_lo, v54, v1
	s_wait_alu 0xfffd
	v_add_co_ci_u32_e32 v1, vcc_lo, v55, v2, vcc_lo
	v_lshlrev_b64_e32 v[12:13], 3, v[22:23]
	v_add_co_u32 v10, vcc_lo, v54, v10
	s_wait_alu 0xfffd
	v_add_co_ci_u32_e32 v11, vcc_lo, v55, v11, vcc_lo
	s_delay_alu instid0(VALU_DEP_3)
	v_add_co_u32 v12, vcc_lo, v54, v12
	s_wait_alu 0xfffd
	v_add_co_ci_u32_e32 v13, vcc_lo, v55, v13, vcc_lo
	s_clause 0x3
	global_store_b64 v[3:4], v[6:7], off
	global_store_b64 v[0:1], v[8:9], off
	;; [unrolled: 1-line block ×4, first 2 shown]
	s_nop 0
	s_sendmsg sendmsg(MSG_DEALLOC_VGPRS)
	s_endpgm
	.section	.rodata,"a",@progbits
	.p2align	6, 0x0
	.amdhsa_kernel fft_rtc_back_len168_factors_2_3_4_7_wgs_252_tpt_14_dim2_sp_ip_CI_sbcc_twdbase8_2step_dirReg
		.amdhsa_group_segment_fixed_size 0
		.amdhsa_private_segment_fixed_size 0
		.amdhsa_kernarg_size 88
		.amdhsa_user_sgpr_count 2
		.amdhsa_user_sgpr_dispatch_ptr 0
		.amdhsa_user_sgpr_queue_ptr 0
		.amdhsa_user_sgpr_kernarg_segment_ptr 1
		.amdhsa_user_sgpr_dispatch_id 0
		.amdhsa_user_sgpr_private_segment_size 0
		.amdhsa_wavefront_size32 1
		.amdhsa_uses_dynamic_stack 0
		.amdhsa_enable_private_segment 0
		.amdhsa_system_sgpr_workgroup_id_x 1
		.amdhsa_system_sgpr_workgroup_id_y 0
		.amdhsa_system_sgpr_workgroup_id_z 0
		.amdhsa_system_sgpr_workgroup_info 0
		.amdhsa_system_vgpr_workitem_id 0
		.amdhsa_next_free_vgpr 126
		.amdhsa_next_free_sgpr 24
		.amdhsa_reserve_vcc 1
		.amdhsa_float_round_mode_32 0
		.amdhsa_float_round_mode_16_64 0
		.amdhsa_float_denorm_mode_32 3
		.amdhsa_float_denorm_mode_16_64 3
		.amdhsa_fp16_overflow 0
		.amdhsa_workgroup_processor_mode 1
		.amdhsa_memory_ordered 1
		.amdhsa_forward_progress 0
		.amdhsa_round_robin_scheduling 0
		.amdhsa_exception_fp_ieee_invalid_op 0
		.amdhsa_exception_fp_denorm_src 0
		.amdhsa_exception_fp_ieee_div_zero 0
		.amdhsa_exception_fp_ieee_overflow 0
		.amdhsa_exception_fp_ieee_underflow 0
		.amdhsa_exception_fp_ieee_inexact 0
		.amdhsa_exception_int_div_zero 0
	.end_amdhsa_kernel
	.text
.Lfunc_end0:
	.size	fft_rtc_back_len168_factors_2_3_4_7_wgs_252_tpt_14_dim2_sp_ip_CI_sbcc_twdbase8_2step_dirReg, .Lfunc_end0-fft_rtc_back_len168_factors_2_3_4_7_wgs_252_tpt_14_dim2_sp_ip_CI_sbcc_twdbase8_2step_dirReg
                                        ; -- End function
	.section	.AMDGPU.csdata,"",@progbits
; Kernel info:
; codeLenInByte = 9488
; NumSgprs: 26
; NumVgprs: 126
; ScratchSize: 0
; MemoryBound: 0
; FloatMode: 240
; IeeeMode: 1
; LDSByteSize: 0 bytes/workgroup (compile time only)
; SGPRBlocks: 3
; VGPRBlocks: 15
; NumSGPRsForWavesPerEU: 26
; NumVGPRsForWavesPerEU: 126
; Occupancy: 10
; WaveLimiterHint : 1
; COMPUTE_PGM_RSRC2:SCRATCH_EN: 0
; COMPUTE_PGM_RSRC2:USER_SGPR: 2
; COMPUTE_PGM_RSRC2:TRAP_HANDLER: 0
; COMPUTE_PGM_RSRC2:TGID_X_EN: 1
; COMPUTE_PGM_RSRC2:TGID_Y_EN: 0
; COMPUTE_PGM_RSRC2:TGID_Z_EN: 0
; COMPUTE_PGM_RSRC2:TIDIG_COMP_CNT: 0
	.text
	.p2alignl 7, 3214868480
	.fill 96, 4, 3214868480
	.type	__hip_cuid_6b8c8b41521280c3,@object ; @__hip_cuid_6b8c8b41521280c3
	.section	.bss,"aw",@nobits
	.globl	__hip_cuid_6b8c8b41521280c3
__hip_cuid_6b8c8b41521280c3:
	.byte	0                               ; 0x0
	.size	__hip_cuid_6b8c8b41521280c3, 1

	.ident	"AMD clang version 19.0.0git (https://github.com/RadeonOpenCompute/llvm-project roc-6.4.0 25133 c7fe45cf4b819c5991fe208aaa96edf142730f1d)"
	.section	".note.GNU-stack","",@progbits
	.addrsig
	.addrsig_sym __hip_cuid_6b8c8b41521280c3
	.amdgpu_metadata
---
amdhsa.kernels:
  - .args:
      - .actual_access:  read_only
        .address_space:  global
        .offset:         0
        .size:           8
        .value_kind:     global_buffer
      - .address_space:  global
        .offset:         8
        .size:           8
        .value_kind:     global_buffer
      - .actual_access:  read_only
        .address_space:  global
        .offset:         16
        .size:           8
        .value_kind:     global_buffer
      - .actual_access:  read_only
        .address_space:  global
        .offset:         24
        .size:           8
        .value_kind:     global_buffer
      - .offset:         32
        .size:           8
        .value_kind:     by_value
      - .actual_access:  read_only
        .address_space:  global
        .offset:         40
        .size:           8
        .value_kind:     global_buffer
      - .actual_access:  read_only
        .address_space:  global
        .offset:         48
        .size:           8
        .value_kind:     global_buffer
      - .offset:         56
        .size:           4
        .value_kind:     by_value
      - .actual_access:  read_only
        .address_space:  global
        .offset:         64
        .size:           8
        .value_kind:     global_buffer
      - .actual_access:  read_only
        .address_space:  global
        .offset:         72
        .size:           8
        .value_kind:     global_buffer
      - .address_space:  global
        .offset:         80
        .size:           8
        .value_kind:     global_buffer
    .group_segment_fixed_size: 0
    .kernarg_segment_align: 8
    .kernarg_segment_size: 88
    .language:       OpenCL C
    .language_version:
      - 2
      - 0
    .max_flat_workgroup_size: 252
    .name:           fft_rtc_back_len168_factors_2_3_4_7_wgs_252_tpt_14_dim2_sp_ip_CI_sbcc_twdbase8_2step_dirReg
    .private_segment_fixed_size: 0
    .sgpr_count:     26
    .sgpr_spill_count: 0
    .symbol:         fft_rtc_back_len168_factors_2_3_4_7_wgs_252_tpt_14_dim2_sp_ip_CI_sbcc_twdbase8_2step_dirReg.kd
    .uniform_work_group_size: 1
    .uses_dynamic_stack: false
    .vgpr_count:     126
    .vgpr_spill_count: 0
    .wavefront_size: 32
    .workgroup_processor_mode: 1
amdhsa.target:   amdgcn-amd-amdhsa--gfx1201
amdhsa.version:
  - 1
  - 2
...

	.end_amdgpu_metadata
